;; amdgpu-corpus repo=ROCm/rocFFT kind=compiled arch=gfx906 opt=O3
	.text
	.amdgcn_target "amdgcn-amd-amdhsa--gfx906"
	.amdhsa_code_object_version 6
	.protected	bluestein_single_back_len364_dim1_sp_op_CI_CI ; -- Begin function bluestein_single_back_len364_dim1_sp_op_CI_CI
	.globl	bluestein_single_back_len364_dim1_sp_op_CI_CI
	.p2align	8
	.type	bluestein_single_back_len364_dim1_sp_op_CI_CI,@function
bluestein_single_back_len364_dim1_sp_op_CI_CI: ; @bluestein_single_back_len364_dim1_sp_op_CI_CI
; %bb.0:
	s_load_dwordx4 s[0:3], s[4:5], 0x28
	v_mul_u32_u24_e32 v1, 0x4ed, v0
	v_add_u32_sdwa v46, s6, v1 dst_sel:DWORD dst_unused:UNUSED_PAD src0_sel:DWORD src1_sel:WORD_1
	v_mov_b32_e32 v47, 0
	s_waitcnt lgkmcnt(0)
	v_cmp_gt_u64_e32 vcc, s[0:1], v[46:47]
	s_and_saveexec_b64 s[0:1], vcc
	s_cbranch_execz .LBB0_23
; %bb.1:
	s_load_dwordx2 s[12:13], s[4:5], 0x0
	s_load_dwordx2 s[14:15], s[4:5], 0x38
	v_mov_b32_e32 v2, 52
	v_mul_lo_u16_sdwa v1, v1, v2 dst_sel:DWORD dst_unused:UNUSED_PAD src0_sel:WORD_1 src1_sel:DWORD
	v_sub_u16_e32 v54, v0, v1
	v_cmp_gt_u16_e32 vcc, 28, v54
	v_lshlrev_b32_e32 v53, 3, v54
	s_and_saveexec_b64 s[6:7], vcc
	s_cbranch_execz .LBB0_3
; %bb.2:
	s_load_dwordx2 s[0:1], s[4:5], 0x18
	v_or_b32_e32 v32, 0xe0, v54
	s_waitcnt lgkmcnt(0)
	s_load_dwordx4 s[8:11], s[0:1], 0x0
	s_waitcnt lgkmcnt(0)
	v_mad_u64_u32 v[0:1], s[0:1], s10, v46, 0
	v_mad_u64_u32 v[2:3], s[0:1], s8, v54, 0
	;; [unrolled: 1-line block ×4, first 2 shown]
	v_mov_b32_e32 v1, v4
	v_lshlrev_b64 v[0:1], 3, v[0:1]
	v_mov_b32_e32 v3, v5
	v_mov_b32_e32 v6, s3
	v_lshlrev_b64 v[2:3], 3, v[2:3]
	v_add_co_u32_e64 v39, s[0:1], s2, v0
	v_addc_co_u32_e64 v40, s[0:1], v6, v1, s[0:1]
	v_add_co_u32_e64 v0, s[0:1], v39, v2
	v_addc_co_u32_e64 v1, s[0:1], v40, v3, s[0:1]
	s_mul_i32 s0, s9, 0xe0
	s_mul_hi_u32 s3, s8, 0xe0
	s_add_i32 s3, s3, s0
	s_mul_i32 s2, s8, 0xe0
	v_mov_b32_e32 v3, s3
	v_add_co_u32_e64 v2, s[0:1], s2, v0
	v_addc_co_u32_e64 v3, s[0:1], v1, v3, s[0:1]
	v_mov_b32_e32 v13, s3
	v_add_co_u32_e64 v12, s[0:1], s2, v2
	v_addc_co_u32_e64 v13, s[0:1], v3, v13, s[0:1]
	v_mov_b32_e32 v15, s3
	v_add_co_u32_e64 v14, s[0:1], s2, v12
	global_load_dwordx2 v[4:5], v53, s[12:13]
	global_load_dwordx2 v[6:7], v53, s[12:13] offset:224
	global_load_dwordx2 v[8:9], v53, s[12:13] offset:448
	;; [unrolled: 1-line block ×3, first 2 shown]
	v_addc_co_u32_e64 v15, s[0:1], v13, v15, s[0:1]
	global_load_dwordx2 v[16:17], v[0:1], off
	global_load_dwordx2 v[18:19], v[2:3], off
	;; [unrolled: 1-line block ×4, first 2 shown]
	v_mov_b32_e32 v24, s3
	v_add_co_u32_e64 v0, s[0:1], s2, v14
	v_addc_co_u32_e64 v1, s[0:1], v15, v24, s[0:1]
	v_mov_b32_e32 v25, s3
	global_load_dwordx2 v[2:3], v[0:1], off
	v_add_co_u32_e64 v0, s[0:1], s2, v0
	v_addc_co_u32_e64 v1, s[0:1], v1, v25, s[0:1]
	v_mad_u64_u32 v[14:15], s[0:1], s8, v32, 0
	global_load_dwordx2 v[12:13], v[0:1], off
	v_mov_b32_e32 v34, s3
	v_mov_b32_e32 v35, s3
	global_load_dwordx2 v[24:25], v53, s[12:13] offset:896
	global_load_dwordx2 v[26:27], v53, s[12:13] offset:1120
	;; [unrolled: 1-line block ×4, first 2 shown]
	s_waitcnt vmcnt(9)
	v_mad_u64_u32 v[32:33], s[0:1], s9, v32, v[15:16]
	v_add_co_u32_e64 v0, s[0:1], s2, v0
	v_addc_co_u32_e64 v1, s[0:1], v1, v34, s[0:1]
	v_add_co_u32_e64 v33, s[0:1], s2, v0
	v_mov_b32_e32 v15, v32
	v_addc_co_u32_e64 v34, s[0:1], v1, v35, s[0:1]
	global_load_dwordx2 v[35:36], v[0:1], off
	global_load_dwordx2 v[37:38], v[33:34], off
	v_lshlrev_b64 v[0:1], 3, v[14:15]
	v_mov_b32_e32 v14, 0x1c0
	v_mad_u64_u32 v[14:15], s[0:1], s8, v14, v[33:34]
	v_add_co_u32_e64 v0, s[0:1], v39, v0
	v_addc_co_u32_e64 v1, s[0:1], v40, v1, s[0:1]
	s_mul_i32 s0, s9, 0x1c0
	v_add_u32_e32 v15, s0, v15
	global_load_dwordx2 v[0:1], v[0:1], off
	v_mov_b32_e32 v34, s3
	global_load_dwordx2 v[32:33], v[14:15], off
	global_load_dwordx2 v[39:40], v53, s[12:13] offset:1792
	v_add_co_u32_e64 v14, s[0:1], s2, v14
	v_addc_co_u32_e64 v15, s[0:1], v15, v34, s[0:1]
	global_load_dwordx2 v[41:42], v[14:15], off
	global_load_dwordx2 v[43:44], v53, s[12:13] offset:2016
	global_load_dwordx2 v[47:48], v53, s[12:13] offset:2240
	v_add_co_u32_e64 v14, s[0:1], s2, v14
	v_addc_co_u32_e64 v15, s[0:1], v15, v34, s[0:1]
	global_load_dwordx2 v[49:50], v[14:15], off
	global_load_dwordx2 v[51:52], v53, s[12:13] offset:2464
	v_add_co_u32_e64 v14, s[0:1], s2, v14
	v_addc_co_u32_e64 v15, s[0:1], v15, v34, s[0:1]
	global_load_dwordx2 v[55:56], v[14:15], off
	global_load_dwordx2 v[57:58], v53, s[12:13] offset:2688
	v_mul_f32_e32 v14, v17, v5
	v_mul_f32_e32 v5, v16, v5
	v_fmac_f32_e32 v14, v16, v4
	v_fma_f32 v15, v17, v4, -v5
	s_waitcnt vmcnt(20)
	v_mul_f32_e32 v4, v18, v7
	v_fma_f32 v5, v19, v6, -v4
	v_mul_f32_e32 v4, v19, v7
	v_fmac_f32_e32 v4, v18, v6
	ds_write2_b64 v53, v[14:15], v[4:5] offset1:28
	s_waitcnt vmcnt(19)
	v_mul_f32_e32 v4, v20, v9
	v_fma_f32 v5, v21, v8, -v4
	v_mul_f32_e32 v4, v21, v9
	v_fmac_f32_e32 v4, v20, v8
	s_waitcnt vmcnt(15)
	v_mul_f32_e32 v8, v3, v25
	v_mul_f32_e32 v9, v2, v25
	;; [unrolled: 1-line block ×4, first 2 shown]
	v_fmac_f32_e32 v8, v2, v24
	v_fma_f32 v9, v3, v24, -v9
	s_waitcnt vmcnt(14)
	v_mul_f32_e32 v2, v13, v27
	v_mul_f32_e32 v3, v12, v27
	v_fmac_f32_e32 v6, v22, v10
	v_fma_f32 v7, v23, v10, -v7
	v_fmac_f32_e32 v2, v12, v26
	v_fma_f32 v3, v13, v26, -v3
	ds_write2_b64 v53, v[4:5], v[6:7] offset0:56 offset1:84
	ds_write2_b64 v53, v[8:9], v[2:3] offset0:112 offset1:140
	s_waitcnt vmcnt(11)
	v_mul_f32_e32 v2, v36, v29
	v_mul_f32_e32 v3, v35, v29
	s_waitcnt vmcnt(10)
	v_mul_f32_e32 v4, v38, v31
	v_mul_f32_e32 v5, v37, v31
	v_fmac_f32_e32 v2, v35, v28
	v_fma_f32 v3, v36, v28, -v3
	v_fmac_f32_e32 v4, v37, v30
	v_fma_f32 v5, v38, v30, -v5
	ds_write2_b64 v53, v[2:3], v[4:5] offset0:168 offset1:196
	v_add_u32_e32 v4, 0x800, v53
	s_waitcnt vmcnt(7)
	v_mul_f32_e32 v2, v1, v40
	v_fmac_f32_e32 v2, v0, v39
	v_mul_f32_e32 v0, v0, v40
	v_fma_f32 v3, v1, v39, -v0
	s_waitcnt vmcnt(5)
	v_mul_f32_e32 v0, v33, v44
	v_mul_f32_e32 v1, v32, v44
	v_fmac_f32_e32 v0, v32, v43
	v_fma_f32 v1, v33, v43, -v1
	ds_write2_b64 v53, v[2:3], v[0:1] offset0:224 offset1:252
	s_waitcnt vmcnt(4)
	v_mul_f32_e32 v0, v42, v48
	v_mul_f32_e32 v1, v41, v48
	s_waitcnt vmcnt(2)
	v_mul_f32_e32 v2, v50, v52
	v_mul_f32_e32 v3, v49, v52
	v_fmac_f32_e32 v0, v41, v47
	v_fma_f32 v1, v42, v47, -v1
	v_fmac_f32_e32 v2, v49, v51
	v_fma_f32 v3, v50, v51, -v3
	ds_write2_b64 v4, v[0:1], v[2:3] offset0:24 offset1:52
	s_waitcnt vmcnt(0)
	v_mul_f32_e32 v0, v56, v58
	v_mul_f32_e32 v1, v55, v58
	v_fmac_f32_e32 v0, v55, v57
	v_fma_f32 v1, v56, v57, -v1
	ds_write_b64 v53, v[0:1] offset:2688
.LBB0_3:
	s_or_b64 exec, exec, s[6:7]
	s_load_dwordx2 s[0:1], s[4:5], 0x20
	s_load_dwordx2 s[2:3], s[4:5], 0x8
	v_mov_b32_e32 v8, 0
	v_mov_b32_e32 v9, 0
	s_waitcnt lgkmcnt(0)
	; wave barrier
	s_waitcnt lgkmcnt(0)
                                        ; implicit-def: $vgpr14
                                        ; implicit-def: $vgpr16
                                        ; implicit-def: $vgpr28
                                        ; implicit-def: $vgpr34
                                        ; implicit-def: $vgpr26
                                        ; implicit-def: $vgpr22
	s_and_saveexec_b64 s[4:5], vcc
	s_cbranch_execz .LBB0_5
; %bb.4:
	ds_read2_b64 v[8:11], v53 offset1:28
	ds_read2_b64 v[20:23], v53 offset0:56 offset1:84
	ds_read2_b64 v[24:27], v53 offset0:112 offset1:140
	;; [unrolled: 1-line block ×4, first 2 shown]
	v_add_u32_e32 v0, 0x800, v53
	ds_read2_b64 v[28:31], v0 offset0:24 offset1:52
	ds_read_b64 v[34:35], v53 offset:2688
.LBB0_5:
	s_or_b64 exec, exec, s[4:5]
	s_waitcnt lgkmcnt(0)
	v_sub_f32_e32 v32, v11, v35
	v_mul_f32_e32 v36, 0xbeedf032, v32
	v_sub_f32_e32 v33, v21, v31
	v_add_f32_e32 v43, v34, v10
	v_mov_b32_e32 v0, v36
	v_mul_f32_e32 v37, 0xbf52af12, v33
	v_fmac_f32_e32 v0, 0x3f62ad3f, v43
	v_add_f32_e32 v49, v30, v20
	v_mov_b32_e32 v1, v37
	v_sub_f32_e32 v55, v10, v34
	v_add_f32_e32 v44, v35, v11
	v_add_f32_e32 v0, v0, v8
	v_fmac_f32_e32 v1, 0x3f116cb1, v49
	s_mov_b32 s5, 0x3f62ad3f
	v_mul_f32_e32 v38, 0xbeedf032, v55
	v_sub_f32_e32 v116, v20, v30
	v_add_f32_e32 v0, v1, v0
	v_fma_f32 v1, v44, s5, -v38
	s_mov_b32 s4, 0x3f116cb1
	v_add_f32_e32 v51, v31, v21
	v_mul_f32_e32 v39, 0xbf52af12, v116
	v_sub_f32_e32 v117, v23, v29
	v_add_f32_e32 v1, v1, v9
	v_fma_f32 v2, v51, s4, -v39
	v_mul_f32_e32 v40, 0xbf7e222b, v117
	v_add_f32_e32 v1, v2, v1
	v_add_f32_e32 v52, v28, v22
	v_mov_b32_e32 v2, v40
	v_sub_f32_e32 v118, v22, v28
	v_fmac_f32_e32 v2, 0x3df6dbef, v52
	s_mov_b32 s6, 0x3df6dbef
	v_add_f32_e32 v57, v29, v23
	v_mul_f32_e32 v41, 0xbf7e222b, v118
	v_sub_f32_e32 v119, v25, v19
	v_add_f32_e32 v0, v2, v0
	v_fma_f32 v2, v57, s6, -v41
	v_mul_f32_e32 v42, 0xbf6f5d39, v119
	v_add_f32_e32 v1, v2, v1
	v_add_f32_e32 v59, v18, v24
	v_mov_b32_e32 v2, v42
	v_sub_f32_e32 v123, v24, v18
	v_fmac_f32_e32 v2, 0xbeb58ec6, v59
	;; [unrolled: 12-line block ×3, first 2 shown]
	s_mov_b32 s8, 0xbf3f9e67
	v_add_f32_e32 v64, v17, v27
	v_mul_f32_e32 v56, 0xbf29c268, v125
	v_sub_f32_e32 v126, v13, v15
	v_add_f32_e32 v0, v2, v0
	v_fma_f32 v2, v64, s8, -v56
	v_mul_f32_e32 v58, 0xbe750f2a, v126
	v_add_f32_e32 v1, v2, v1
	v_add_f32_e32 v73, v14, v12
	v_mov_b32_e32 v2, v58
	v_sub_f32_e32 v127, v12, v14
	s_mov_b32 s9, 0xbf788fa5
	v_fmac_f32_e32 v2, 0xbf788fa5, v73
	v_add_f32_e32 v76, v15, v13
	v_mul_f32_e32 v61, 0xbe750f2a, v127
	v_add_f32_e32 v47, v2, v0
	v_fma_f32 v0, v76, s9, -v61
	v_mul_f32_e32 v63, 0xbf52af12, v32
	v_add_f32_e32 v48, v0, v1
	v_mov_b32_e32 v0, v63
	v_mul_f32_e32 v65, 0xbf6f5d39, v33
	v_fmac_f32_e32 v0, 0x3f116cb1, v43
	v_mov_b32_e32 v1, v65
	v_add_f32_e32 v0, v0, v8
	v_fmac_f32_e32 v1, 0xbeb58ec6, v49
	v_mul_f32_e32 v68, 0xbf52af12, v55
	v_add_f32_e32 v0, v1, v0
	v_fma_f32 v1, v44, s4, -v68
	v_mul_f32_e32 v70, 0xbf6f5d39, v116
	v_add_f32_e32 v1, v1, v9
	v_fma_f32 v2, v51, s7, -v70
	v_mul_f32_e32 v66, 0xbe750f2a, v117
	v_add_f32_e32 v1, v2, v1
	v_mov_b32_e32 v2, v66
	v_fmac_f32_e32 v2, 0xbf788fa5, v52
	v_mul_f32_e32 v72, 0xbe750f2a, v118
	v_add_f32_e32 v0, v2, v0
	v_fma_f32 v2, v57, s9, -v72
	v_mul_f32_e32 v67, 0x3f29c268, v119
	v_add_f32_e32 v1, v2, v1
	v_mov_b32_e32 v2, v67
	v_fmac_f32_e32 v2, 0xbf3f9e67, v59
	;; [unrolled: 7-line block ×4, first 2 shown]
	v_mul_f32_e32 v77, 0x3eedf032, v127
	v_mul_f32_e32 v78, 0xbf7e222b, v32
	v_fma_f32 v3, v76, s5, -v77
	v_add_f32_e32 v2, v2, v0
	v_mov_b32_e32 v0, v78
	v_mul_f32_e32 v79, 0xbe750f2a, v33
	v_add_f32_e32 v3, v3, v1
	v_fmac_f32_e32 v0, 0x3df6dbef, v43
	v_mov_b32_e32 v1, v79
	v_add_f32_e32 v0, v0, v8
	v_fmac_f32_e32 v1, 0xbf788fa5, v49
	v_mul_f32_e32 v80, 0x3f6f5d39, v117
	v_add_f32_e32 v0, v1, v0
	v_mov_b32_e32 v1, v80
	v_fmac_f32_e32 v1, 0xbeb58ec6, v52
	v_mul_f32_e32 v81, 0x3eedf032, v119
	v_add_f32_e32 v0, v1, v0
	v_mov_b32_e32 v1, v81
	;; [unrolled: 4-line block ×4, first 2 shown]
	v_fmac_f32_e32 v1, 0xbf3f9e67, v73
	v_mul_f32_e32 v84, 0xbf7e222b, v55
	v_add_f32_e32 v0, v1, v0
	v_fma_f32 v1, v44, s6, -v84
	v_mul_f32_e32 v85, 0xbe750f2a, v116
	v_add_f32_e32 v1, v1, v9
	v_fma_f32 v4, v51, s9, -v85
	;; [unrolled: 3-line block ×6, first 2 shown]
	v_mul_f32_e32 v90, 0xbf6f5d39, v32
	v_add_f32_e32 v1, v4, v1
	v_mov_b32_e32 v4, v90
	v_mul_f32_e32 v91, 0x3f29c268, v33
	v_fmac_f32_e32 v4, 0xbeb58ec6, v43
	v_mov_b32_e32 v5, v91
	v_add_f32_e32 v4, v4, v8
	v_fmac_f32_e32 v5, 0xbf3f9e67, v49
	v_mul_f32_e32 v96, 0xbf6f5d39, v55
	v_add_f32_e32 v4, v5, v4
	v_fma_f32 v5, v44, s7, -v96
	v_mul_f32_e32 v97, 0x3f29c268, v116
	v_add_f32_e32 v5, v5, v9
	v_fma_f32 v6, v51, s8, -v97
	v_mul_f32_e32 v92, 0x3eedf032, v117
	v_add_f32_e32 v5, v6, v5
	v_mov_b32_e32 v6, v92
	v_fmac_f32_e32 v6, 0x3f62ad3f, v52
	v_mul_f32_e32 v98, 0x3eedf032, v118
	v_add_f32_e32 v4, v6, v4
	v_fma_f32 v6, v57, s5, -v98
	v_mul_f32_e32 v93, 0xbf7e222b, v119
	v_add_f32_e32 v5, v6, v5
	v_mov_b32_e32 v6, v93
	v_fmac_f32_e32 v6, 0x3df6dbef, v59
	;; [unrolled: 7-line block ×4, first 2 shown]
	v_mul_f32_e32 v101, 0x3f52af12, v127
	v_mul_f32_e32 v107, 0xbf29c268, v32
	v_fma_f32 v7, v76, s4, -v101
	v_add_f32_e32 v6, v6, v4
	v_mov_b32_e32 v4, v107
	v_mul_f32_e32 v106, 0x3f7e222b, v33
	v_add_f32_e32 v7, v7, v5
	v_fmac_f32_e32 v4, 0xbf3f9e67, v43
	v_mov_b32_e32 v5, v106
	v_add_f32_e32 v4, v4, v8
	v_fmac_f32_e32 v5, 0x3df6dbef, v49
	v_mul_f32_e32 v102, 0xbf52af12, v117
	v_add_f32_e32 v4, v5, v4
	v_mov_b32_e32 v5, v102
	v_fmac_f32_e32 v5, 0x3f116cb1, v52
	v_mul_f32_e32 v103, 0x3e750f2a, v119
	v_add_f32_e32 v4, v5, v4
	v_mov_b32_e32 v5, v103
	;; [unrolled: 4-line block ×4, first 2 shown]
	v_fmac_f32_e32 v5, 0xbeb58ec6, v73
	v_mul_f32_e32 v112, 0xbf29c268, v55
	v_add_f32_e32 v4, v5, v4
	v_fma_f32 v5, v44, s8, -v112
	v_mul_f32_e32 v113, 0x3f7e222b, v116
	v_add_f32_e32 v5, v5, v9
	v_fma_f32 v108, v51, s6, -v113
	;; [unrolled: 3-line block ×5, first 2 shown]
	v_add_f32_e32 v5, v108, v5
	v_mul_f32_e32 v108, 0xbf6f5d39, v127
	v_fma_f32 v114, v76, s7, -v108
	v_add_f32_e32 v5, v114, v5
	v_mul_f32_e32 v114, 0xbe750f2a, v32
	v_mov_b32_e32 v32, v114
	v_mul_f32_e32 v115, 0x3eedf032, v33
	v_fmac_f32_e32 v32, 0xbf788fa5, v43
	v_mov_b32_e32 v33, v115
	v_add_f32_e32 v32, v32, v8
	v_fmac_f32_e32 v33, 0x3f62ad3f, v49
	v_mul_f32_e32 v120, 0xbe750f2a, v55
	v_add_f32_e32 v32, v33, v32
	v_fma_f32 v33, v44, s9, -v120
	v_mul_f32_e32 v121, 0x3eedf032, v116
	v_add_f32_e32 v33, v33, v9
	v_fma_f32 v55, v51, s5, -v121
	v_mul_f32_e32 v116, 0xbf29c268, v117
	v_add_f32_e32 v33, v55, v33
	v_mov_b32_e32 v55, v116
	v_fmac_f32_e32 v55, 0xbf3f9e67, v52
	v_mul_f32_e32 v122, 0xbf29c268, v118
	v_add_f32_e32 v32, v55, v32
	v_fma_f32 v55, v57, s8, -v122
	v_mul_f32_e32 v117, 0x3f52af12, v119
	v_add_f32_e32 v33, v55, v33
	v_mov_b32_e32 v55, v117
	v_fmac_f32_e32 v55, 0x3f116cb1, v59
	;; [unrolled: 7-line block ×3, first 2 shown]
	v_mul_f32_e32 v124, 0xbf6f5d39, v125
	v_add_f32_e32 v32, v55, v32
	v_fma_f32 v55, v64, s7, -v124
	v_mul_f32_e32 v119, 0x3f7e222b, v126
	v_add_f32_e32 v33, v55, v33
	v_mul_f32_e32 v125, 0x3f7e222b, v127
	v_mov_b32_e32 v55, v119
	v_fmac_f32_e32 v55, 0x3df6dbef, v73
	v_fma_f32 v126, v76, s6, -v125
	v_add_f32_e32 v32, v55, v32
	v_add_f32_e32 v33, v126, v33
	v_mul_lo_u16_e32 v55, 13, v54
	s_waitcnt lgkmcnt(0)
	; wave barrier
	s_and_saveexec_b64 s[4:5], vcc
	s_cbranch_execz .LBB0_7
; %bb.6:
	v_mul_f32_e32 v126, 0xbf788fa5, v44
	v_add_f32_e32 v120, v120, v126
	v_mul_f32_e32 v126, 0x3f62ad3f, v51
	v_add_f32_e32 v121, v121, v126
	v_add_f32_e32 v120, v120, v9
	;; [unrolled: 1-line block ×3, first 2 shown]
	v_mul_f32_e32 v121, 0xbf3f9e67, v57
	v_add_f32_e32 v121, v122, v121
	v_add_f32_e32 v120, v121, v120
	v_mul_f32_e32 v121, 0x3f116cb1, v60
	v_add_f32_e32 v121, v123, v121
	v_add_f32_e32 v120, v121, v120
	v_mul_f32_e32 v121, 0xbeb58ec6, v64
	v_add_f32_e32 v121, v124, v121
	v_mul_f32_e32 v124, 0xbf788fa5, v43
	v_sub_f32_e32 v114, v124, v114
	v_mul_f32_e32 v124, 0x3f62ad3f, v49
	v_sub_f32_e32 v115, v124, v115
	v_add_f32_e32 v114, v114, v8
	v_add_f32_e32 v114, v115, v114
	v_mul_f32_e32 v115, 0xbf3f9e67, v52
	v_sub_f32_e32 v115, v115, v116
	v_add_f32_e32 v114, v115, v114
	v_mul_f32_e32 v115, 0x3f116cb1, v59
	v_sub_f32_e32 v115, v115, v117
	;; [unrolled: 3-line block ×4, first 2 shown]
	v_mul_f32_e32 v123, 0x3f62ad3f, v44
	v_mul_f32_e32 v116, 0x3f116cb1, v44
	;; [unrolled: 1-line block ×3, first 2 shown]
	v_add_f32_e32 v114, v119, v114
	v_mul_f32_e32 v119, 0xbeb58ec6, v44
	v_mul_f32_e32 v44, 0xbf3f9e67, v44
	v_add_f32_e32 v44, v112, v44
	v_mul_f32_e32 v112, 0x3df6dbef, v51
	v_add_f32_e32 v112, v113, v112
	v_add_f32_e32 v44, v44, v9
	;; [unrolled: 1-line block ×3, first 2 shown]
	v_mul_f32_e32 v112, 0x3f116cb1, v57
	v_add_f32_e32 v111, v111, v112
	v_add_f32_e32 v44, v111, v44
	v_mul_f32_e32 v111, 0xbf788fa5, v60
	v_add_f32_e32 v120, v121, v120
	v_mul_f32_e32 v121, 0x3df6dbef, v76
	v_add_f32_e32 v110, v110, v111
	v_mul_f32_e32 v122, 0x3f62ad3f, v43
	v_add_f32_e32 v121, v125, v121
	v_mul_f32_e32 v124, 0x3f116cb1, v43
	v_mul_f32_e32 v117, 0x3df6dbef, v43
	v_mul_f32_e32 v125, 0xbeb58ec6, v43
	;; [unrolled: 1-line block ×3, first 2 shown]
	v_add_f32_e32 v44, v110, v44
	v_mul_f32_e32 v110, 0x3f62ad3f, v64
	v_add_f32_e32 v115, v121, v120
	v_mul_f32_e32 v120, 0x3f116cb1, v49
	v_mul_f32_e32 v112, 0xbeb58ec6, v49
	v_add_f32_e32 v109, v109, v110
	v_mul_f32_e32 v110, 0xbf788fa5, v49
	v_sub_f32_e32 v43, v43, v107
	v_mul_f32_e32 v107, 0xbf3f9e67, v49
	v_mul_f32_e32 v49, 0x3df6dbef, v49
	v_sub_f32_e32 v49, v49, v106
	v_add_f32_e32 v43, v43, v8
	v_add_f32_e32 v43, v49, v43
	v_mul_f32_e32 v49, 0x3f116cb1, v52
	v_sub_f32_e32 v49, v49, v102
	v_add_f32_e32 v43, v49, v43
	v_mul_f32_e32 v49, 0xbf788fa5, v59
	v_sub_f32_e32 v49, v49, v103
	;; [unrolled: 3-line block ×3, first 2 shown]
	v_add_f32_e32 v44, v109, v44
	v_mul_f32_e32 v109, 0xbeb58ec6, v76
	v_add_f32_e32 v43, v49, v43
	v_mul_f32_e32 v49, 0xbeb58ec6, v73
	v_mul_f32_e32 v113, 0x3f116cb1, v51
	;; [unrolled: 1-line block ×3, first 2 shown]
	v_add_f32_e32 v108, v108, v109
	v_mul_f32_e32 v109, 0xbf788fa5, v51
	v_mul_f32_e32 v51, 0xbf3f9e67, v51
	v_sub_f32_e32 v49, v49, v105
	v_add_f32_e32 v96, v96, v119
	v_mul_f32_e32 v102, 0x3df6dbef, v57
	v_mul_f32_e32 v104, 0xbf788fa5, v57
	v_add_f32_e32 v43, v49, v43
	v_mul_f32_e32 v49, 0xbeb58ec6, v57
	v_mul_f32_e32 v57, 0x3f62ad3f, v57
	v_add_f32_e32 v51, v97, v51
	v_add_f32_e32 v96, v96, v9
	;; [unrolled: 1-line block ×4, first 2 shown]
	v_mul_f32_e32 v119, 0xbeb58ec6, v60
	v_mul_f32_e32 v96, 0xbf3f9e67, v60
	v_add_f32_e32 v51, v57, v51
	v_mul_f32_e32 v57, 0x3f62ad3f, v60
	v_mul_f32_e32 v60, 0x3df6dbef, v60
	v_add_f32_e32 v60, v99, v60
	v_add_f32_e32 v51, v60, v51
	v_mul_f32_e32 v60, 0xbf788fa5, v64
	v_sub_f32_e32 v90, v125, v90
	v_mul_f32_e32 v106, 0x3df6dbef, v52
	v_mul_f32_e32 v103, 0xbf788fa5, v52
	;; [unrolled: 1-line block ×4, first 2 shown]
	v_add_f32_e32 v60, v100, v60
	v_sub_f32_e32 v91, v107, v91
	v_add_f32_e32 v90, v90, v8
	v_add_f32_e32 v44, v108, v44
	v_mul_f32_e32 v108, 0xbeb58ec6, v59
	v_mul_f32_e32 v97, 0xbf3f9e67, v59
	;; [unrolled: 1-line block ×4, first 2 shown]
	v_add_f32_e32 v51, v60, v51
	v_mul_f32_e32 v60, 0x3f116cb1, v76
	v_add_f32_e32 v90, v91, v90
	v_sub_f32_e32 v52, v52, v92
	v_mul_f32_e32 v99, 0xbf3f9e67, v62
	v_add_f32_e32 v60, v101, v60
	v_mul_f32_e32 v101, 0x3df6dbef, v62
	v_mul_f32_e32 v107, 0x3f116cb1, v62
	;; [unrolled: 1-line block ×3, first 2 shown]
	v_add_f32_e32 v52, v52, v90
	v_sub_f32_e32 v59, v59, v93
	v_mul_f32_e32 v91, 0xbf788fa5, v73
	v_mul_f32_e32 v90, 0x3f62ad3f, v73
	v_add_f32_e32 v59, v59, v52
	v_mul_f32_e32 v125, 0xbf3f9e67, v73
	v_mul_f32_e32 v73, 0x3f116cb1, v73
	v_add_f32_e32 v52, v60, v51
	v_sub_f32_e32 v51, v62, v94
	v_add_f32_e32 v51, v51, v59
	v_sub_f32_e32 v59, v73, v95
	v_add_f32_e32 v51, v59, v51
	v_add_f32_e32 v59, v84, v118
	v_add_f32_e32 v59, v59, v9
	v_add_f32_e32 v60, v85, v109
	v_add_f32_e32 v59, v60, v59
	v_add_f32_e32 v49, v86, v49
	v_mul_f32_e32 v100, 0xbf3f9e67, v64
	v_mul_f32_e32 v121, 0x3df6dbef, v64
	;; [unrolled: 1-line block ×3, first 2 shown]
	v_add_f32_e32 v49, v49, v59
	v_add_f32_e32 v57, v87, v57
	v_mul_f32_e32 v92, 0xbf788fa5, v76
	v_mul_f32_e32 v93, 0x3f62ad3f, v76
	;; [unrolled: 1-line block ×3, first 2 shown]
	v_add_f32_e32 v49, v57, v49
	v_add_f32_e32 v57, v88, v64
	;; [unrolled: 1-line block ×5, first 2 shown]
	v_sub_f32_e32 v49, v117, v78
	v_add_f32_e32 v49, v49, v8
	v_sub_f32_e32 v57, v110, v79
	v_add_f32_e32 v49, v57, v49
	;; [unrolled: 2-line block ×6, first 2 shown]
	v_add_f32_e32 v49, v68, v116
	v_add_f32_e32 v49, v49, v9
	;; [unrolled: 1-line block ×12, first 2 shown]
	v_sub_f32_e32 v49, v124, v63
	v_add_f32_e32 v38, v38, v123
	v_sub_f32_e32 v36, v122, v36
	v_add_f32_e32 v49, v49, v8
	v_add_f32_e32 v38, v38, v9
	;; [unrolled: 1-line block ×16, first 2 shown]
	v_sub_f32_e32 v37, v120, v37
	v_add_f32_e32 v9, v15, v9
	v_add_f32_e32 v8, v14, v8
	v_sub_f32_e32 v57, v112, v65
	v_add_f32_e32 v38, v39, v38
	v_add_f32_e32 v39, v41, v102
	v_add_f32_e32 v36, v37, v36
	v_sub_f32_e32 v37, v106, v40
	v_add_f32_e32 v9, v17, v9
	;; [unrolled: 4-line block ×9, first 2 shown]
	v_add_f32_e32 v37, v37, v36
	v_add_f32_e32 v9, v35, v9
	;; [unrolled: 1-line block ×3, first 2 shown]
	v_lshlrev_b32_e32 v10, 3, v55
	v_add_f32_e32 v63, v57, v49
	ds_write2_b64 v10, v[8:9], v[37:38] offset1:1
	ds_write2_b64 v10, v[63:64], v[59:60] offset0:2 offset1:3
	ds_write2_b64 v10, v[51:52], v[43:44] offset0:4 offset1:5
	;; [unrolled: 1-line block ×5, first 2 shown]
	ds_write_b64 v10, v[47:48] offset:96
.LBB0_7:
	s_or_b64 exec, exec, s[4:5]
	s_load_dwordx4 s[4:7], s[0:1], 0x0
	s_movk_i32 s0, 0x4f
	v_mul_lo_u16_sdwa v8, v54, s0 dst_sel:DWORD dst_unused:UNUSED_PAD src0_sel:BYTE_0 src1_sel:DWORD
	v_lshrrev_b16_e32 v38, 10, v8
	v_mul_lo_u16_e32 v8, 13, v38
	v_sub_u16_e32 v8, v54, v8
	v_and_b32_e32 v39, 0xff, v8
	v_mul_u32_u24_e32 v8, 6, v39
	v_lshlrev_b32_e32 v20, 3, v8
	s_waitcnt lgkmcnt(0)
	; wave barrier
	s_waitcnt lgkmcnt(0)
	global_load_dwordx4 v[16:19], v20, s[2:3]
	global_load_dwordx4 v[12:15], v20, s[2:3] offset:16
	global_load_dwordx4 v[8:11], v20, s[2:3] offset:32
	v_add_u32_e32 v57, 0x400, v53
	ds_read2_b64 v[20:23], v53 offset1:52
	ds_read2_b64 v[24:27], v53 offset0:104 offset1:156
	ds_read_b64 v[34:35], v53 offset:2496
	ds_read2_b64 v[28:31], v57 offset0:80 offset1:132
	s_mov_b32 s1, 0x3f3bfb3b
	s_mov_b32 s8, 0xbf3bfb3b
	s_mov_b32 s0, 0x3f5ff5aa
	s_waitcnt lgkmcnt(0)
	; wave barrier
	s_waitcnt vmcnt(2) lgkmcnt(0)
	v_mul_f32_e32 v36, v23, v17
	v_mul_f32_e32 v37, v22, v17
	v_mul_f32_e32 v40, v25, v19
	v_mul_f32_e32 v41, v24, v19
	s_waitcnt vmcnt(1)
	v_mul_f32_e32 v42, v27, v13
	v_mul_f32_e32 v43, v26, v13
	s_waitcnt vmcnt(0)
	v_mul_f32_e32 v49, v31, v9
	v_mul_f32_e32 v50, v30, v9
	;; [unrolled: 1-line block ×6, first 2 shown]
	v_fma_f32 v22, v22, v16, -v36
	v_fmac_f32_e32 v37, v23, v16
	v_fma_f32 v23, v24, v18, -v40
	v_fmac_f32_e32 v41, v25, v18
	;; [unrolled: 2-line block ×6, first 2 shown]
	v_add_f32_e32 v28, v22, v27
	v_add_f32_e32 v29, v37, v52
	v_add_f32_e32 v30, v23, v26
	v_add_f32_e32 v31, v41, v50
	v_sub_f32_e32 v22, v22, v27
	v_sub_f32_e32 v27, v37, v52
	v_add_f32_e32 v34, v24, v25
	v_add_f32_e32 v35, v43, v45
	;; [unrolled: 1-line block ×4, first 2 shown]
	v_sub_f32_e32 v23, v23, v26
	v_sub_f32_e32 v26, v41, v50
	;; [unrolled: 1-line block ×10, first 2 shown]
	v_add_f32_e32 v34, v34, v36
	v_add_f32_e32 v35, v35, v37
	;; [unrolled: 1-line block ×4, first 2 shown]
	v_sub_f32_e32 v44, v24, v23
	v_sub_f32_e32 v45, v25, v26
	v_mul_f32_e32 v28, 0x3f4a47b2, v28
	v_mul_f32_e32 v36, 0x3d64c772, v30
	v_add_f32_e32 v20, v20, v34
	v_add_f32_e32 v21, v21, v35
	v_sub_f32_e32 v24, v22, v24
	v_sub_f32_e32 v25, v27, v25
	;; [unrolled: 1-line block ×4, first 2 shown]
	v_add_f32_e32 v22, v42, v22
	v_add_f32_e32 v27, v43, v27
	v_mul_f32_e32 v29, 0x3f4a47b2, v29
	v_mul_f32_e32 v42, 0xbf08b237, v44
	;; [unrolled: 1-line block ×3, first 2 shown]
	v_fma_f32 v36, v40, s1, -v36
	v_fma_f32 v40, v40, s8, -v28
	v_fmac_f32_e32 v28, 0x3d64c772, v30
	v_mov_b32_e32 v30, v20
	v_mov_b32_e32 v49, v21
	v_mul_f32_e32 v37, 0x3d64c772, v31
	v_mul_f32_e32 v44, 0x3f5ff5aa, v23
	;; [unrolled: 1-line block ×3, first 2 shown]
	v_fmac_f32_e32 v30, 0xbf955555, v34
	v_fmac_f32_e32 v49, 0xbf955555, v35
	v_fma_f32 v34, v41, s8, -v29
	v_fmac_f32_e32 v29, 0x3d64c772, v31
	v_fma_f32 v31, v23, s0, -v42
	v_fma_f32 v35, v26, s0, -v43
	s_mov_b32 s0, 0xbeae86e6
	v_fma_f32 v37, v41, s1, -v37
	v_fmac_f32_e32 v43, 0x3eae86e6, v25
	v_fma_f32 v41, v24, s0, -v44
	v_fma_f32 v44, v25, s0, -v45
	v_fmac_f32_e32 v42, 0x3eae86e6, v24
	v_add_f32_e32 v28, v28, v30
	v_add_f32_e32 v36, v36, v30
	v_add_f32_e32 v30, v40, v30
	v_fmac_f32_e32 v43, 0x3ee1c552, v27
	v_fmac_f32_e32 v35, 0x3ee1c552, v27
	;; [unrolled: 1-line block ×3, first 2 shown]
	v_add_f32_e32 v29, v29, v49
	v_add_f32_e32 v40, v34, v49
	v_fmac_f32_e32 v42, 0x3ee1c552, v22
	v_fmac_f32_e32 v31, 0x3ee1c552, v22
	;; [unrolled: 1-line block ×3, first 2 shown]
	v_add_f32_e32 v22, v43, v28
	v_add_f32_e32 v24, v44, v30
	v_sub_f32_e32 v26, v36, v35
	v_add_f32_e32 v34, v35, v36
	v_sub_f32_e32 v36, v30, v44
	v_sub_f32_e32 v30, v28, v43
	v_mul_u32_u24_e32 v28, 0x5b, v38
	v_add_f32_e32 v37, v37, v49
	v_sub_f32_e32 v23, v29, v42
	v_add_lshl_u32 v56, v28, v39, 3
	v_sub_f32_e32 v25, v40, v41
	v_add_f32_e32 v27, v31, v37
	v_sub_f32_e32 v35, v37, v31
	v_add_f32_e32 v37, v41, v40
	v_add_f32_e32 v31, v42, v29
	ds_write2_b64 v56, v[20:21], v[22:23] offset1:13
	ds_write2_b64 v56, v[24:25], v[26:27] offset0:26 offset1:39
	ds_write2_b64 v56, v[34:35], v[36:37] offset0:52 offset1:65
	ds_write_b64 v56, v[30:31] offset:624
	s_waitcnt lgkmcnt(0)
	; wave barrier
	s_waitcnt lgkmcnt(0)
	ds_read2_b64 v[38:41], v53 offset1:91
	ds_read2_b64 v[42:45], v57 offset0:54 offset1:145
	v_cmp_gt_u16_e64 s[0:1], 39, v54
	s_and_saveexec_b64 s[8:9], s[0:1]
	s_cbranch_execz .LBB0_9
; %bb.8:
	ds_read2_b64 v[34:37], v53 offset0:52 offset1:143
	ds_read2_b64 v[30:33], v57 offset0:106 offset1:197
.LBB0_9:
	s_or_b64 exec, exec, s[8:9]
	v_mad_u64_u32 v[20:21], s[8:9], v54, 24, s[2:3]
	v_add_u32_e32 v22, 52, v54
	global_load_dwordx2 v[51:52], v[20:21], off offset:640
	global_load_dwordx4 v[24:27], v[20:21], off offset:624
	v_subrev_u32_e32 v20, 39, v54
	v_cndmask_b32_e64 v20, v20, v22, s[0:1]
	v_mul_hi_i32_i24_e32 v21, 24, v20
	v_mul_i32_i24_e32 v20, 24, v20
	v_mov_b32_e32 v22, s3
	v_add_co_u32_e64 v28, s[2:3], s2, v20
	v_addc_co_u32_e64 v29, s[2:3], v22, v21, s[2:3]
	global_load_dwordx4 v[20:23], v[28:29], off offset:624
	global_load_dwordx2 v[49:50], v[28:29], off offset:640
	s_waitcnt vmcnt(3) lgkmcnt(0)
	v_mul_f32_e32 v60, v45, v52
	s_waitcnt vmcnt(2)
	v_mul_f32_e32 v28, v41, v25
	v_mul_f32_e32 v29, v40, v25
	;; [unrolled: 1-line block ×5, first 2 shown]
	v_fma_f32 v28, v40, v24, -v28
	v_fmac_f32_e32 v29, v41, v24
	v_fma_f32 v40, v42, v26, -v58
	v_fmac_f32_e32 v59, v43, v26
	s_waitcnt vmcnt(1)
	v_mul_f32_e32 v62, v37, v21
	v_mul_f32_e32 v63, v36, v21
	;; [unrolled: 1-line block ×4, first 2 shown]
	s_waitcnt vmcnt(0)
	v_mul_f32_e32 v66, v33, v50
	v_mul_f32_e32 v67, v32, v50
	v_fma_f32 v41, v44, v51, -v60
	v_fmac_f32_e32 v61, v45, v51
	v_fma_f32 v42, v36, v20, -v62
	v_fmac_f32_e32 v63, v37, v20
	;; [unrolled: 2-line block ×4, first 2 shown]
	v_sub_f32_e32 v32, v38, v40
	v_sub_f32_e32 v33, v39, v59
	;; [unrolled: 1-line block ×8, first 2 shown]
	v_fma_f32 v58, v38, 2.0, -v32
	v_fma_f32 v59, v39, 2.0, -v33
	;; [unrolled: 1-line block ×8, first 2 shown]
	v_sub_f32_e32 v36, v32, v36
	v_add_f32_e32 v37, v33, v37
	v_sub_f32_e32 v40, v43, v31
	v_add_f32_e32 v41, v45, v30
	v_sub_f32_e32 v34, v58, v28
	v_sub_f32_e32 v35, v59, v29
	;; [unrolled: 1-line block ×4, first 2 shown]
	v_fma_f32 v30, v32, 2.0, -v36
	v_fma_f32 v31, v33, 2.0, -v37
	;; [unrolled: 1-line block ×8, first 2 shown]
	ds_write2_b64 v53, v[28:29], v[30:31] offset1:91
	ds_write2_b64 v57, v[34:35], v[36:37] offset0:54 offset1:145
	s_and_saveexec_b64 s[2:3], s[0:1]
	s_cbranch_execz .LBB0_11
; %bb.10:
	v_add_u32_e32 v32, 0x400, v53
	ds_write2_b64 v53, v[42:43], v[44:45] offset0:52 offset1:143
	ds_write2_b64 v32, v[38:39], v[40:41] offset0:106 offset1:197
.LBB0_11:
	s_or_b64 exec, exec, s[2:3]
	s_waitcnt lgkmcnt(0)
	; wave barrier
	s_waitcnt lgkmcnt(0)
	s_and_saveexec_b64 s[2:3], vcc
	s_cbranch_execz .LBB0_13
; %bb.12:
	global_load_dwordx2 v[32:33], v53, s[12:13] offset:2912
	s_add_u32 s8, s12, 0xb60
	s_addc_u32 s9, s13, 0
	global_load_dwordx2 v[81:82], v53, s[8:9] offset:224
	global_load_dwordx2 v[83:84], v53, s[8:9] offset:448
	;; [unrolled: 1-line block ×12, first 2 shown]
	ds_read_b64 v[57:58], v53
	v_add_u32_e32 v105, 0x400, v53
	v_add_u32_e32 v106, 0x800, v53
	s_waitcnt vmcnt(12) lgkmcnt(0)
	v_mul_f32_e32 v59, v58, v33
	v_mul_f32_e32 v60, v57, v33
	v_fma_f32 v59, v57, v32, -v59
	v_fmac_f32_e32 v60, v58, v32
	ds_write_b64 v53, v[59:60]
	ds_read2_b64 v[57:60], v53 offset0:28 offset1:56
	ds_read2_b64 v[61:64], v53 offset0:84 offset1:112
	;; [unrolled: 1-line block ×6, first 2 shown]
	s_waitcnt vmcnt(11) lgkmcnt(5)
	v_mul_f32_e32 v32, v58, v82
	v_mul_f32_e32 v33, v57, v82
	s_waitcnt vmcnt(10)
	v_mul_f32_e32 v107, v60, v84
	v_mul_f32_e32 v82, v59, v84
	s_waitcnt vmcnt(9) lgkmcnt(4)
	v_mul_f32_e32 v108, v62, v86
	v_mul_f32_e32 v84, v61, v86
	s_waitcnt vmcnt(8)
	v_mul_f32_e32 v109, v64, v88
	v_mul_f32_e32 v86, v63, v88
	;; [unrolled: 6-line block ×6, first 2 shown]
	v_fma_f32 v32, v57, v81, -v32
	v_fmac_f32_e32 v33, v58, v81
	v_fma_f32 v81, v59, v83, -v107
	v_fmac_f32_e32 v82, v60, v83
	;; [unrolled: 2-line block ×12, first 2 shown]
	ds_write2_b64 v53, v[32:33], v[81:82] offset0:28 offset1:56
	ds_write2_b64 v53, v[83:84], v[85:86] offset0:84 offset1:112
	;; [unrolled: 1-line block ×6, first 2 shown]
.LBB0_13:
	s_or_b64 exec, exec, s[2:3]
	s_waitcnt lgkmcnt(0)
	; wave barrier
	s_waitcnt lgkmcnt(0)
	s_and_saveexec_b64 s[2:3], vcc
	s_cbranch_execz .LBB0_15
; %bb.14:
	ds_read2_b64 v[28:31], v53 offset1:28
	ds_read2_b64 v[34:37], v53 offset0:56 offset1:84
	ds_read2_b64 v[42:45], v53 offset0:112 offset1:140
	;; [unrolled: 1-line block ×4, first 2 shown]
	v_add_u32_e32 v0, 0x800, v53
	ds_read2_b64 v[0:3], v0 offset0:24 offset1:52
	ds_read_b64 v[47:48], v53 offset:2688
.LBB0_15:
	s_or_b64 exec, exec, s[2:3]
	s_waitcnt lgkmcnt(0)
	v_sub_f32_e32 v69, v31, v48
	v_add_f32_e32 v57, v47, v30
	v_add_f32_e32 v72, v48, v31
	s_mov_b32 s8, 0xbf788fa5
	v_mul_f32_e32 v81, 0xbe750f2a, v69
	v_sub_f32_e32 v70, v35, v3
	v_mul_f32_e32 v83, 0xbf788fa5, v72
	v_fma_f32 v32, v57, s8, -v81
	v_add_f32_e32 v58, v2, v34
	v_add_f32_e32 v74, v3, v35
	s_mov_b32 s9, 0x3f62ad3f
	v_mul_f32_e32 v82, 0x3eedf032, v70
	v_sub_f32_e32 v59, v30, v47
	v_add_f32_e32 v32, v28, v32
	v_mov_b32_e32 v33, v83
	v_mul_f32_e32 v85, 0x3f62ad3f, v74
	v_fma_f32 v60, v58, s9, -v82
	v_fmac_f32_e32 v33, 0xbe750f2a, v59
	v_sub_f32_e32 v61, v34, v2
	v_add_f32_e32 v32, v60, v32
	v_mov_b32_e32 v60, v85
	v_add_f32_e32 v33, v29, v33
	v_fmac_f32_e32 v60, 0x3eedf032, v61
	v_sub_f32_e32 v71, v37, v1
	v_add_f32_e32 v33, v60, v33
	v_add_f32_e32 v60, v0, v36
	v_add_f32_e32 v76, v1, v37
	s_mov_b32 s10, 0xbf3f9e67
	v_mul_f32_e32 v84, 0xbf29c268, v71
	v_mul_f32_e32 v87, 0xbf3f9e67, v76
	v_fma_f32 v62, v60, s10, -v84
	v_sub_f32_e32 v63, v36, v0
	v_add_f32_e32 v32, v62, v32
	v_mov_b32_e32 v62, v87
	v_fmac_f32_e32 v62, 0xbf29c268, v63
	v_sub_f32_e32 v73, v43, v7
	v_add_f32_e32 v33, v62, v33
	v_add_f32_e32 v62, v6, v42
	v_add_f32_e32 v78, v7, v43
	s_mov_b32 s11, 0x3f116cb1
	v_mul_f32_e32 v86, 0x3f52af12, v73
	v_mul_f32_e32 v89, 0x3f116cb1, v78
	v_fma_f32 v64, v62, s11, -v86
	v_sub_f32_e32 v65, v42, v6
	v_add_f32_e32 v32, v64, v32
	v_mov_b32_e32 v64, v89
	;; [unrolled: 12-line block ×4, first 2 shown]
	v_fmac_f32_e32 v93, 0x3f7e222b, v68
	v_add_f32_e32 v33, v93, v33
	s_waitcnt lgkmcnt(0)
	; wave barrier
	s_and_saveexec_b64 s[2:3], vcc
	s_cbranch_execz .LBB0_17
; %bb.16:
	v_mul_f32_e32 v93, 0xbf788fa5, v57
	v_mul_f32_e32 v95, 0x3f62ad3f, v58
	v_add_f32_e32 v81, v93, v81
	v_mul_f32_e32 v94, 0xbe750f2a, v59
	v_mul_f32_e32 v97, 0xbf3f9e67, v60
	v_add_f32_e32 v81, v28, v81
	v_add_f32_e32 v82, v95, v82
	v_mul_f32_e32 v96, 0x3eedf032, v61
	v_mul_f32_e32 v99, 0x3f116cb1, v62
	v_sub_f32_e32 v83, v83, v94
	v_add_f32_e32 v81, v82, v81
	v_add_f32_e32 v82, v97, v84
	v_mul_f32_e32 v98, 0xbf29c268, v63
	v_mul_f32_e32 v101, 0xbeb58ec6, v64
	v_add_f32_e32 v83, v29, v83
	v_sub_f32_e32 v85, v85, v96
	v_add_f32_e32 v81, v82, v81
	v_add_f32_e32 v82, v99, v86
	v_mul_f32_e32 v100, 0x3f52af12, v65
	v_mul_f32_e32 v103, 0x3df6dbef, v66
	v_add_f32_e32 v83, v85, v83
	v_sub_f32_e32 v85, v87, v98
	v_add_f32_e32 v81, v82, v81
	v_add_f32_e32 v82, v101, v88
	v_mul_f32_e32 v102, 0xbf6f5d39, v67
	v_add_f32_e32 v83, v85, v83
	v_sub_f32_e32 v85, v89, v100
	v_add_f32_e32 v81, v82, v81
	v_add_f32_e32 v82, v103, v90
	v_mul_f32_e32 v104, 0x3f7e222b, v68
	v_add_f32_e32 v83, v85, v83
	v_sub_f32_e32 v85, v91, v102
	v_add_f32_e32 v82, v82, v81
	v_mul_f32_e32 v81, 0xbf3f9e67, v72
	v_add_f32_e32 v83, v85, v83
	v_sub_f32_e32 v85, v92, v104
	v_mov_b32_e32 v84, v81
	v_mul_f32_e32 v92, 0x3df6dbef, v74
	v_add_f32_e32 v83, v85, v83
	v_fmac_f32_e32 v84, 0x3f29c268, v59
	v_mov_b32_e32 v85, v92
	v_add_f32_e32 v84, v29, v84
	v_fmac_f32_e32 v85, 0xbf7e222b, v61
	v_mul_f32_e32 v93, 0x3f116cb1, v76
	v_add_f32_e32 v84, v85, v84
	v_mov_b32_e32 v85, v93
	v_fmac_f32_e32 v85, 0x3f52af12, v63
	v_mul_f32_e32 v94, 0xbf788fa5, v78
	v_add_f32_e32 v84, v85, v84
	v_mov_b32_e32 v85, v94
	v_fmac_f32_e32 v85, 0xbe750f2a, v65
	v_mul_f32_e32 v95, 0x3f62ad3f, v79
	v_add_f32_e32 v84, v85, v84
	v_mov_b32_e32 v85, v95
	v_fmac_f32_e32 v85, 0xbeedf032, v67
	v_mul_f32_e32 v96, 0xbeb58ec6, v80
	v_add_f32_e32 v84, v85, v84
	v_mov_b32_e32 v85, v96
	v_fmac_f32_e32 v85, 0x3f6f5d39, v68
	v_mul_f32_e32 v97, 0xbf29c268, v69
	v_add_f32_e32 v85, v85, v84
	v_mov_b32_e32 v84, v97
	v_mul_f32_e32 v98, 0x3f7e222b, v70
	v_fmac_f32_e32 v84, 0xbf3f9e67, v57
	v_mov_b32_e32 v86, v98
	v_add_f32_e32 v84, v28, v84
	v_fmac_f32_e32 v86, 0x3df6dbef, v58
	v_mul_f32_e32 v99, 0xbf52af12, v71
	v_add_f32_e32 v84, v86, v84
	v_mov_b32_e32 v86, v99
	v_fmac_f32_e32 v86, 0x3f116cb1, v60
	v_mul_f32_e32 v100, 0x3e750f2a, v73
	v_add_f32_e32 v84, v86, v84
	v_mov_b32_e32 v86, v100
	v_fmac_f32_e32 v86, 0xbf788fa5, v62
	v_mul_f32_e32 v101, 0x3eedf032, v75
	v_add_f32_e32 v84, v86, v84
	v_mov_b32_e32 v86, v101
	v_fmac_f32_e32 v86, 0x3f62ad3f, v64
	v_mul_f32_e32 v102, 0xbf6f5d39, v77
	v_add_f32_e32 v84, v86, v84
	v_mov_b32_e32 v86, v102
	v_fmac_f32_e32 v86, 0xbeb58ec6, v66
	v_mul_f32_e32 v103, 0xbeb58ec6, v72
	v_add_f32_e32 v84, v86, v84
	v_mov_b32_e32 v86, v103
	v_mul_f32_e32 v104, 0xbf3f9e67, v74
	v_fmac_f32_e32 v86, 0x3f6f5d39, v59
	v_mov_b32_e32 v87, v104
	v_add_f32_e32 v86, v29, v86
	v_fmac_f32_e32 v87, 0xbf29c268, v61
	v_mul_f32_e32 v105, 0x3f62ad3f, v76
	v_add_f32_e32 v86, v87, v86
	v_mov_b32_e32 v87, v105
	v_fmac_f32_e32 v87, 0xbeedf032, v63
	v_mul_f32_e32 v106, 0x3df6dbef, v78
	v_add_f32_e32 v86, v87, v86
	v_mov_b32_e32 v87, v106
	v_fmac_f32_e32 v87, 0x3f7e222b, v65
	v_mul_f32_e32 v107, 0xbf788fa5, v79
	v_add_f32_e32 v86, v87, v86
	v_mov_b32_e32 v87, v107
	v_fmac_f32_e32 v87, 0xbe750f2a, v67
	v_mul_f32_e32 v108, 0x3f116cb1, v80
	v_add_f32_e32 v86, v87, v86
	v_mov_b32_e32 v87, v108
	v_fmac_f32_e32 v87, 0xbf52af12, v68
	v_mul_f32_e32 v109, 0xbf6f5d39, v69
	v_add_f32_e32 v87, v87, v86
	v_mov_b32_e32 v86, v109
	v_mul_f32_e32 v110, 0x3f29c268, v70
	v_fmac_f32_e32 v86, 0xbeb58ec6, v57
	v_mov_b32_e32 v88, v110
	v_add_f32_e32 v86, v28, v86
	v_fmac_f32_e32 v88, 0xbf3f9e67, v58
	v_mul_f32_e32 v111, 0x3eedf032, v71
	v_add_f32_e32 v86, v88, v86
	v_mov_b32_e32 v88, v111
	v_fmac_f32_e32 v88, 0x3f62ad3f, v60
	v_mul_f32_e32 v112, 0xbf7e222b, v73
	v_add_f32_e32 v86, v88, v86
	v_mov_b32_e32 v88, v112
	v_fmac_f32_e32 v88, 0x3df6dbef, v62
	v_mul_f32_e32 v113, 0x3e750f2a, v75
	v_add_f32_e32 v86, v88, v86
	v_mov_b32_e32 v88, v113
	v_fmac_f32_e32 v88, 0xbf788fa5, v64
	v_mul_f32_e32 v114, 0x3f52af12, v77
	v_add_f32_e32 v86, v88, v86
	v_mov_b32_e32 v88, v114
	v_fmac_f32_e32 v88, 0x3f116cb1, v66
	v_mul_f32_e32 v115, 0x3df6dbef, v72
	v_add_f32_e32 v86, v88, v86
	v_mov_b32_e32 v88, v115
	v_mul_f32_e32 v116, 0xbf788fa5, v74
	v_fmac_f32_e32 v88, 0x3f7e222b, v59
	v_mov_b32_e32 v89, v116
	v_add_f32_e32 v88, v29, v88
	v_fmac_f32_e32 v89, 0x3e750f2a, v61
	v_mul_f32_e32 v117, 0xbeb58ec6, v76
	v_add_f32_e32 v31, v31, v29
	v_add_f32_e32 v88, v89, v88
	v_mov_b32_e32 v89, v117
	v_add_f32_e32 v31, v35, v31
	v_fmac_f32_e32 v89, 0xbf6f5d39, v63
	v_mul_f32_e32 v118, 0x3f62ad3f, v78
	v_add_f32_e32 v31, v37, v31
	v_add_f32_e32 v88, v89, v88
	;; [unrolled: 6-line block ×5, first 2 shown]
	v_mov_b32_e32 v88, v121
	v_mul_f32_e32 v122, 0xbe750f2a, v70
	v_add_f32_e32 v1, v1, v5
	v_fmac_f32_e32 v88, 0x3df6dbef, v57
	v_mov_b32_e32 v90, v122
	v_add_f32_e32 v1, v3, v1
	v_add_f32_e32 v3, v30, v28
	;; [unrolled: 1-line block ×3, first 2 shown]
	v_fmac_f32_e32 v90, 0xbf788fa5, v58
	v_mul_f32_e32 v123, 0x3f6f5d39, v71
	v_add_f32_e32 v3, v34, v3
	v_add_f32_e32 v88, v90, v88
	v_mov_b32_e32 v90, v123
	v_add_f32_e32 v3, v36, v3
	v_fmac_f32_e32 v90, 0xbeb58ec6, v60
	v_mul_f32_e32 v124, 0x3eedf032, v73
	v_add_f32_e32 v3, v42, v3
	v_add_f32_e32 v88, v90, v88
	v_mov_b32_e32 v90, v124
	v_add_f32_e32 v3, v44, v3
	;; [unrolled: 6-line block ×4, first 2 shown]
	v_fmac_f32_e32 v90, 0xbf3f9e67, v66
	v_mul_f32_e32 v127, 0x3f116cb1, v72
	v_add_f32_e32 v0, v0, v3
	v_fmac_f32_e32 v81, 0xbf29c268, v59
	v_add_f32_e32 v88, v90, v88
	v_mov_b32_e32 v90, v127
	v_mul_f32_e32 v128, 0xbeb58ec6, v74
	v_add_f32_e32 v0, v2, v0
	v_add_f32_e32 v2, v29, v81
	v_fmac_f32_e32 v92, 0x3f7e222b, v61
	v_fmac_f32_e32 v90, 0x3f52af12, v59
	v_mov_b32_e32 v91, v128
	v_add_f32_e32 v2, v92, v2
	v_fmac_f32_e32 v93, 0xbf52af12, v63
	v_add_f32_e32 v90, v29, v90
	v_fmac_f32_e32 v91, 0x3f6f5d39, v61
	v_mul_f32_e32 v129, 0xbf788fa5, v76
	v_add_f32_e32 v2, v93, v2
	v_fmac_f32_e32 v94, 0x3e750f2a, v65
	v_add_f32_e32 v90, v91, v90
	v_mov_b32_e32 v91, v129
	v_add_f32_e32 v2, v94, v2
	v_fmac_f32_e32 v95, 0x3eedf032, v67
	v_fmac_f32_e32 v91, 0x3e750f2a, v63
	v_mul_f32_e32 v130, 0xbf3f9e67, v78
	v_add_f32_e32 v2, v95, v2
	v_fmac_f32_e32 v96, 0xbf6f5d39, v68
	v_add_f32_e32 v90, v91, v90
	v_mov_b32_e32 v91, v130
	v_add_f32_e32 v3, v96, v2
	v_fma_f32 v2, v57, s10, -v97
	v_fmac_f32_e32 v91, 0xbf29c268, v65
	v_mul_f32_e32 v131, 0x3df6dbef, v79
	v_add_f32_e32 v2, v28, v2
	v_fma_f32 v4, v58, s17, -v98
	v_add_f32_e32 v90, v91, v90
	v_mov_b32_e32 v91, v131
	v_add_f32_e32 v2, v4, v2
	v_fma_f32 v4, v60, s11, -v99
	v_fmac_f32_e32 v91, 0xbf7e222b, v67
	v_mul_f32_e32 v132, 0x3f62ad3f, v80
	v_add_f32_e32 v2, v4, v2
	v_fma_f32 v4, v62, s8, -v100
	;; [unrolled: 8-line block ×3, first 2 shown]
	v_fmac_f32_e32 v103, 0xbf6f5d39, v59
	v_add_f32_e32 v91, v91, v90
	v_mov_b32_e32 v90, v133
	v_mul_f32_e32 v134, 0xbf6f5d39, v70
	v_add_f32_e32 v2, v4, v2
	v_add_f32_e32 v4, v29, v103
	v_fmac_f32_e32 v104, 0x3f29c268, v61
	v_fmac_f32_e32 v90, 0x3f116cb1, v57
	v_mov_b32_e32 v135, v134
	v_add_f32_e32 v4, v104, v4
	v_fmac_f32_e32 v105, 0x3eedf032, v63
	v_add_f32_e32 v90, v28, v90
	v_fmac_f32_e32 v135, 0xbeb58ec6, v58
	v_add_f32_e32 v4, v105, v4
	v_fmac_f32_e32 v106, 0xbf7e222b, v65
	v_add_f32_e32 v90, v135, v90
	v_mul_f32_e32 v135, 0xbe750f2a, v71
	v_add_f32_e32 v4, v106, v4
	v_fmac_f32_e32 v107, 0x3e750f2a, v67
	v_mov_b32_e32 v136, v135
	v_add_f32_e32 v4, v107, v4
	v_fmac_f32_e32 v108, 0x3f52af12, v68
	v_fmac_f32_e32 v136, 0xbf788fa5, v60
	v_add_f32_e32 v5, v108, v4
	v_fma_f32 v4, v57, s16, -v109
	v_add_f32_e32 v90, v136, v90
	v_mul_f32_e32 v136, 0x3f29c268, v73
	v_add_f32_e32 v4, v28, v4
	v_fma_f32 v6, v58, s10, -v110
	v_mov_b32_e32 v137, v136
	v_add_f32_e32 v4, v6, v4
	v_fma_f32 v6, v60, s9, -v111
	v_fmac_f32_e32 v137, 0xbf3f9e67, v62
	v_add_f32_e32 v4, v6, v4
	v_fma_f32 v6, v62, s17, -v112
	v_add_f32_e32 v90, v137, v90
	v_mul_f32_e32 v137, 0x3f7e222b, v75
	v_add_f32_e32 v4, v6, v4
	v_fma_f32 v6, v64, s8, -v113
	v_mov_b32_e32 v138, v137
	v_add_f32_e32 v4, v6, v4
	v_fma_f32 v6, v66, s11, -v114
	v_fmac_f32_e32 v115, 0xbf7e222b, v59
	v_fmac_f32_e32 v138, 0x3df6dbef, v64
	v_add_f32_e32 v4, v6, v4
	v_add_f32_e32 v6, v29, v115
	v_fmac_f32_e32 v116, 0xbe750f2a, v61
	v_add_f32_e32 v90, v138, v90
	v_mul_f32_e32 v138, 0x3eedf032, v77
	v_add_f32_e32 v6, v116, v6
	v_fmac_f32_e32 v117, 0x3f6f5d39, v63
	v_mov_b32_e32 v139, v138
	v_add_f32_e32 v6, v117, v6
	v_fmac_f32_e32 v118, 0x3eedf032, v65
	v_fmac_f32_e32 v139, 0x3f62ad3f, v66
	v_add_f32_e32 v6, v118, v6
	v_fmac_f32_e32 v119, 0xbf52af12, v67
	v_add_f32_e32 v90, v139, v90
	v_mul_f32_e32 v139, 0x3f62ad3f, v72
	v_add_f32_e32 v6, v119, v6
	v_fmac_f32_e32 v120, 0xbf29c268, v68
	v_mov_b32_e32 v72, v139
	v_mul_f32_e32 v74, 0x3f116cb1, v74
	v_add_f32_e32 v7, v120, v6
	v_fma_f32 v6, v57, s17, -v121
	v_fmac_f32_e32 v72, 0x3eedf032, v59
	v_mov_b32_e32 v140, v74
	v_add_f32_e32 v6, v28, v6
	v_fma_f32 v30, v58, s8, -v122
	v_add_f32_e32 v72, v29, v72
	v_fmac_f32_e32 v140, 0x3f52af12, v61
	v_mul_f32_e32 v76, 0x3df6dbef, v76
	v_add_f32_e32 v6, v30, v6
	v_fma_f32 v30, v60, s16, -v123
	v_add_f32_e32 v72, v140, v72
	v_mov_b32_e32 v140, v76
	v_add_f32_e32 v6, v30, v6
	v_fma_f32 v30, v62, s9, -v124
	v_fmac_f32_e32 v140, 0x3f7e222b, v63
	v_mul_f32_e32 v78, 0xbeb58ec6, v78
	v_add_f32_e32 v6, v30, v6
	v_fma_f32 v30, v64, s11, -v125
	v_add_f32_e32 v72, v140, v72
	v_mov_b32_e32 v140, v78
	v_add_f32_e32 v6, v30, v6
	v_fma_f32 v30, v66, s10, -v126
	v_fmac_f32_e32 v127, 0xbf52af12, v59
	v_fmac_f32_e32 v140, 0x3f6f5d39, v65
	v_mul_f32_e32 v79, 0xbf3f9e67, v79
	v_add_f32_e32 v6, v30, v6
	v_add_f32_e32 v30, v29, v127
	v_fmac_f32_e32 v128, 0xbf6f5d39, v61
	v_add_f32_e32 v72, v140, v72
	v_mov_b32_e32 v140, v79
	v_add_f32_e32 v30, v128, v30
	v_fmac_f32_e32 v129, 0xbe750f2a, v63
	v_fmac_f32_e32 v140, 0x3f29c268, v67
	v_mul_f32_e32 v80, 0xbf788fa5, v80
	v_add_f32_e32 v30, v129, v30
	v_fmac_f32_e32 v130, 0x3f29c268, v65
	v_add_f32_e32 v72, v140, v72
	v_mov_b32_e32 v140, v80
	v_add_f32_e32 v30, v130, v30
	v_fmac_f32_e32 v131, 0x3f7e222b, v67
	v_fmac_f32_e32 v140, 0x3e750f2a, v68
	v_mul_f32_e32 v69, 0xbeedf032, v69
	v_add_f32_e32 v30, v131, v30
	v_fmac_f32_e32 v132, 0x3eedf032, v68
	v_add_f32_e32 v72, v140, v72
	v_mov_b32_e32 v140, v69
	v_mul_f32_e32 v70, 0xbf52af12, v70
	v_add_f32_e32 v31, v132, v30
	v_fma_f32 v30, v57, s11, -v133
	v_fmac_f32_e32 v140, 0x3f62ad3f, v57
	v_mov_b32_e32 v141, v70
	v_add_f32_e32 v30, v28, v30
	v_fma_f32 v34, v58, s16, -v134
	v_add_f32_e32 v140, v28, v140
	v_fmac_f32_e32 v141, 0x3f116cb1, v58
	v_add_f32_e32 v30, v34, v30
	v_fma_f32 v34, v60, s8, -v135
	v_add_f32_e32 v140, v141, v140
	v_mul_f32_e32 v141, 0xbf7e222b, v71
	v_add_f32_e32 v30, v34, v30
	v_fma_f32 v34, v62, s10, -v136
	v_mov_b32_e32 v71, v141
	v_add_f32_e32 v30, v34, v30
	v_fma_f32 v34, v64, s17, -v137
	v_fmac_f32_e32 v71, 0x3df6dbef, v60
	v_mul_f32_e32 v73, 0xbf6f5d39, v73
	v_add_f32_e32 v30, v34, v30
	v_fma_f32 v34, v66, s9, -v138
	v_add_f32_e32 v71, v71, v140
	v_mov_b32_e32 v140, v73
	v_add_f32_e32 v30, v34, v30
	v_fma_f32 v34, v57, s9, -v69
	v_fmac_f32_e32 v140, 0xbeb58ec6, v62
	v_mul_f32_e32 v75, 0xbf29c268, v75
	v_fmac_f32_e32 v139, 0xbeedf032, v59
	v_add_f32_e32 v28, v28, v34
	v_fma_f32 v34, v58, s11, -v70
	v_add_f32_e32 v71, v140, v71
	v_mov_b32_e32 v140, v75
	v_add_f32_e32 v29, v29, v139
	v_fmac_f32_e32 v74, 0xbf52af12, v61
	v_add_f32_e32 v28, v34, v28
	v_fma_f32 v34, v60, s17, -v141
	v_fmac_f32_e32 v140, 0xbf3f9e67, v64
	v_mul_f32_e32 v77, 0xbe750f2a, v77
	v_add_f32_e32 v29, v74, v29
	v_fmac_f32_e32 v76, 0xbf7e222b, v63
	v_add_f32_e32 v28, v34, v28
	v_fma_f32 v34, v62, s16, -v73
	v_add_f32_e32 v71, v140, v71
	v_mov_b32_e32 v140, v77
	v_add_f32_e32 v29, v76, v29
	v_fmac_f32_e32 v78, 0xbf6f5d39, v65
	v_add_f32_e32 v28, v34, v28
	v_fma_f32 v34, v64, s10, -v75
	v_fmac_f32_e32 v140, 0xbf788fa5, v66
	v_add_f32_e32 v29, v78, v29
	v_fmac_f32_e32 v79, 0xbf29c268, v67
	v_add_f32_e32 v28, v34, v28
	v_fma_f32 v34, v66, s8, -v77
	v_add_f32_e32 v71, v140, v71
	v_add_f32_e32 v1, v48, v1
	;; [unrolled: 1-line block ×4, first 2 shown]
	v_fmac_f32_e32 v80, 0xbe750f2a, v68
	v_add_f32_e32 v28, v34, v28
	v_lshlrev_b32_e32 v34, 3, v55
	v_add_f32_e32 v29, v80, v29
	ds_write2_b64 v34, v[0:1], v[71:72] offset1:1
	ds_write2_b64 v34, v[90:91], v[88:89] offset0:2 offset1:3
	ds_write2_b64 v34, v[86:87], v[84:85] offset0:4 offset1:5
	;; [unrolled: 1-line block ×5, first 2 shown]
	ds_write_b64 v34, v[28:29] offset:96
.LBB0_17:
	s_or_b64 exec, exec, s[2:3]
	s_waitcnt lgkmcnt(0)
	; wave barrier
	s_waitcnt lgkmcnt(0)
	ds_read2_b64 v[0:3], v53 offset1:52
	ds_read2_b64 v[4:7], v53 offset0:104 offset1:156
	v_add_u32_e32 v28, 0x400, v53
	ds_read2_b64 v[34:37], v28 offset0:80 offset1:132
	ds_read_b64 v[29:30], v53 offset:2496
	s_mov_b32 s3, 0x3f3bfb3b
	s_waitcnt lgkmcnt(3)
	v_mul_f32_e32 v31, v17, v3
	v_fmac_f32_e32 v31, v16, v2
	v_mul_f32_e32 v2, v17, v2
	v_fma_f32 v2, v16, v3, -v2
	s_waitcnt lgkmcnt(2)
	v_mul_f32_e32 v3, v19, v5
	v_fmac_f32_e32 v3, v18, v4
	v_mul_f32_e32 v4, v19, v4
	v_fma_f32 v4, v18, v5, -v4
	v_mul_f32_e32 v5, v13, v7
	v_fmac_f32_e32 v5, v12, v6
	v_mul_f32_e32 v6, v13, v6
	s_waitcnt lgkmcnt(1)
	v_mul_f32_e32 v13, v9, v37
	v_mul_f32_e32 v9, v9, v36
	v_fmac_f32_e32 v13, v8, v36
	v_fma_f32 v8, v8, v37, -v9
	s_waitcnt lgkmcnt(0)
	v_mul_f32_e32 v9, v11, v30
	v_mul_f32_e32 v11, v11, v29
	v_fma_f32 v6, v12, v7, -v6
	v_mul_f32_e32 v7, v15, v35
	v_mul_f32_e32 v12, v15, v34
	v_fmac_f32_e32 v9, v10, v29
	v_fma_f32 v10, v10, v30, -v11
	v_fmac_f32_e32 v7, v14, v34
	v_fma_f32 v12, v14, v35, -v12
	v_add_f32_e32 v11, v31, v9
	v_add_f32_e32 v14, v2, v10
	v_sub_f32_e32 v2, v2, v10
	v_add_f32_e32 v10, v3, v13
	v_add_f32_e32 v15, v4, v8
	v_sub_f32_e32 v4, v4, v8
	v_add_f32_e32 v8, v5, v7
	v_sub_f32_e32 v5, v7, v5
	;; [unrolled: 2-line block ×4, first 2 shown]
	v_add_f32_e32 v12, v15, v14
	v_add_f32_e32 v7, v8, v7
	v_sub_f32_e32 v9, v31, v9
	v_sub_f32_e32 v16, v10, v11
	;; [unrolled: 1-line block ×4, first 2 shown]
	v_add_f32_e32 v19, v6, v4
	v_sub_f32_e32 v29, v5, v3
	v_sub_f32_e32 v30, v6, v4
	;; [unrolled: 1-line block ×3, first 2 shown]
	v_add_f32_e32 v8, v13, v12
	v_add_f32_e32 v4, v0, v7
	v_sub_f32_e32 v17, v15, v14
	v_sub_f32_e32 v14, v14, v13
	v_sub_f32_e32 v15, v13, v15
	v_add_f32_e32 v18, v5, v3
	v_sub_f32_e32 v31, v9, v5
	v_add_f32_e32 v5, v1, v8
	v_mul_f32_e32 v13, 0x3f08b237, v29
	v_mov_b32_e32 v29, v4
	v_mul_f32_e32 v0, 0x3f4a47b2, v11
	v_mul_f32_e32 v11, 0x3d64c772, v10
	;; [unrolled: 1-line block ×3, first 2 shown]
	v_fmac_f32_e32 v29, 0xbf955555, v7
	v_mov_b32_e32 v7, v5
	v_sub_f32_e32 v3, v3, v9
	v_mul_f32_e32 v1, 0x3f4a47b2, v14
	v_mul_f32_e32 v14, 0x3f08b237, v30
	s_mov_b32 s2, 0xbf5ff5aa
	v_fmac_f32_e32 v7, 0xbf955555, v8
	v_fma_f32 v8, v16, s3, -v11
	v_fma_f32 v11, v17, s3, -v12
	s_mov_b32 s3, 0xbf3bfb3b
	v_sub_f32_e32 v6, v2, v6
	v_add_f32_e32 v9, v18, v9
	v_add_f32_e32 v2, v19, v2
	v_mul_f32_e32 v18, 0xbf5ff5aa, v3
	v_mul_f32_e32 v19, 0xbf5ff5aa, v34
	v_fma_f32 v12, v16, s3, -v0
	v_fmac_f32_e32 v0, 0x3d64c772, v10
	v_fma_f32 v10, v17, s3, -v1
	v_fmac_f32_e32 v1, 0x3d64c772, v15
	v_fma_f32 v3, v3, s2, -v13
	v_fma_f32 v15, v34, s2, -v14
	s_mov_b32 s2, 0x3eae86e6
	v_fmac_f32_e32 v13, 0xbeae86e6, v31
	v_fmac_f32_e32 v14, 0xbeae86e6, v6
	v_fma_f32 v16, v31, s2, -v18
	v_fma_f32 v17, v6, s2, -v19
	v_add_f32_e32 v18, v0, v29
	v_add_f32_e32 v19, v1, v7
	;; [unrolled: 1-line block ×6, first 2 shown]
	v_fmac_f32_e32 v13, 0xbee1c552, v9
	v_fmac_f32_e32 v14, 0xbee1c552, v2
	;; [unrolled: 1-line block ×6, first 2 shown]
	v_add_f32_e32 v6, v14, v18
	v_sub_f32_e32 v7, v19, v13
	v_add_f32_e32 v8, v17, v12
	v_sub_f32_e32 v9, v29, v16
	v_sub_f32_e32 v10, v0, v15
	v_add_f32_e32 v11, v3, v1
	v_add_f32_e32 v0, v15, v0
	v_sub_f32_e32 v1, v1, v3
	v_sub_f32_e32 v2, v12, v17
	v_add_f32_e32 v3, v16, v29
	v_sub_f32_e32 v30, v18, v14
	v_add_f32_e32 v31, v13, v19
	s_waitcnt lgkmcnt(0)
	; wave barrier
	ds_write2_b64 v56, v[4:5], v[6:7] offset1:13
	ds_write2_b64 v56, v[8:9], v[10:11] offset0:26 offset1:39
	ds_write2_b64 v56, v[0:1], v[2:3] offset0:52 offset1:65
	ds_write_b64 v56, v[30:31] offset:624
	s_waitcnt lgkmcnt(0)
	; wave barrier
	s_waitcnt lgkmcnt(0)
	ds_read2_b64 v[4:7], v53 offset1:91
	ds_read2_b64 v[8:11], v28 offset0:54 offset1:145
	s_and_saveexec_b64 s[2:3], s[0:1]
	s_cbranch_execz .LBB0_19
; %bb.18:
	ds_read2_b64 v[0:3], v53 offset0:52 offset1:143
	ds_read2_b64 v[30:33], v28 offset0:106 offset1:197
.LBB0_19:
	s_or_b64 exec, exec, s[2:3]
	s_waitcnt lgkmcnt(1)
	v_mul_f32_e32 v12, v25, v7
	v_fmac_f32_e32 v12, v24, v6
	v_mul_f32_e32 v6, v25, v6
	v_fma_f32 v6, v24, v7, -v6
	s_waitcnt lgkmcnt(0)
	v_mul_f32_e32 v7, v27, v9
	v_fmac_f32_e32 v7, v26, v8
	v_mul_f32_e32 v8, v27, v8
	v_fma_f32 v8, v26, v9, -v8
	v_mul_f32_e32 v9, v52, v11
	v_fmac_f32_e32 v9, v51, v10
	v_mul_f32_e32 v10, v52, v10
	v_fma_f32 v10, v51, v11, -v10
	v_sub_f32_e32 v11, v4, v7
	v_sub_f32_e32 v13, v5, v8
	;; [unrolled: 1-line block ×4, first 2 shown]
	v_fma_f32 v7, v4, 2.0, -v11
	v_fma_f32 v8, v5, 2.0, -v13
	;; [unrolled: 1-line block ×4, first 2 shown]
	v_sub_f32_e32 v4, v7, v4
	v_sub_f32_e32 v5, v8, v5
	v_fma_f32 v6, v7, 2.0, -v4
	v_fma_f32 v7, v8, 2.0, -v5
	v_add_f32_e32 v8, v11, v10
	v_sub_f32_e32 v9, v13, v9
	v_fma_f32 v10, v11, 2.0, -v8
	v_fma_f32 v11, v13, 2.0, -v9
	ds_write2_b64 v53, v[6:7], v[10:11] offset1:91
	ds_write2_b64 v28, v[4:5], v[8:9] offset0:54 offset1:145
	s_and_saveexec_b64 s[2:3], s[0:1]
	s_cbranch_execz .LBB0_21
; %bb.20:
	v_mul_f32_e32 v4, v23, v30
	v_fma_f32 v4, v22, v31, -v4
	v_mul_f32_e32 v9, v21, v3
	v_sub_f32_e32 v7, v1, v4
	v_fmac_f32_e32 v9, v20, v2
	v_mul_f32_e32 v4, v50, v33
	v_mul_f32_e32 v2, v21, v2
	v_fmac_f32_e32 v4, v49, v32
	v_mul_f32_e32 v5, v23, v31
	v_fma_f32 v2, v20, v3, -v2
	v_mul_f32_e32 v3, v50, v32
	v_sub_f32_e32 v10, v9, v4
	v_fmac_f32_e32 v5, v22, v30
	v_fma_f32 v3, v49, v33, -v3
	v_sub_f32_e32 v4, v7, v10
	v_sub_f32_e32 v11, v0, v5
	;; [unrolled: 1-line block ×3, first 2 shown]
	v_fma_f32 v6, v7, 2.0, -v4
	v_fma_f32 v7, v1, 2.0, -v7
	;; [unrolled: 1-line block ×5, first 2 shown]
	v_add_f32_e32 v3, v11, v8
	v_sub_f32_e32 v1, v7, v1
	v_sub_f32_e32 v0, v2, v0
	v_fma_f32 v5, v11, 2.0, -v3
	v_fma_f32 v8, v7, 2.0, -v1
	;; [unrolled: 1-line block ×3, first 2 shown]
	v_add_u32_e32 v2, 0x400, v53
	ds_write2_b64 v53, v[7:8], v[5:6] offset0:52 offset1:143
	ds_write2_b64 v2, v[0:1], v[3:4] offset0:106 offset1:197
.LBB0_21:
	s_or_b64 exec, exec, s[2:3]
	s_waitcnt lgkmcnt(0)
	; wave barrier
	s_waitcnt lgkmcnt(0)
	s_and_b64 exec, exec, vcc
	s_cbranch_execz .LBB0_23
; %bb.22:
	global_load_dwordx2 v[8:9], v53, s[12:13]
	global_load_dwordx2 v[10:11], v53, s[12:13] offset:224
	global_load_dwordx2 v[12:13], v53, s[12:13] offset:448
	global_load_dwordx2 v[14:15], v53, s[12:13] offset:672
	global_load_dwordx2 v[16:17], v53, s[12:13] offset:896
	ds_read_b64 v[18:19], v53
	ds_read2_b64 v[0:3], v53 offset0:28 offset1:56
	ds_read2_b64 v[4:7], v53 offset0:84 offset1:112
	global_load_dwordx2 v[24:25], v53, s[12:13] offset:1120
	global_load_dwordx2 v[26:27], v53, s[12:13] offset:1344
	global_load_dwordx2 v[28:29], v53, s[12:13] offset:1568
	global_load_dwordx2 v[30:31], v53, s[12:13] offset:1792
	v_mad_u64_u32 v[20:21], s[0:1], s6, v46, 0
	v_mad_u64_u32 v[22:23], s[2:3], s4, v54, 0
	s_mul_i32 s3, s5, 0xe0
	s_mul_hi_u32 s6, s4, 0xe0
	s_add_i32 s3, s6, s3
	v_mad_u64_u32 v[32:33], s[6:7], s7, v46, v[21:22]
	v_mov_b32_e32 v35, s15
	s_mul_i32 s2, s4, 0xe0
	v_mov_b32_e32 v21, v32
	v_lshlrev_b64 v[20:21], 3, v[20:21]
	v_mov_b32_e32 v36, s3
	v_add_co_u32_e32 v38, vcc, s14, v20
	v_addc_co_u32_e32 v39, vcc, v35, v21, vcc
	s_mov_b32 s0, 0x16816817
	s_mov_b32 s1, 0x3f668168
	v_mov_b32_e32 v37, s3
	s_waitcnt vmcnt(7) lgkmcnt(1)
	v_mul_f32_e32 v35, v1, v11
	v_mul_f32_e32 v11, v0, v11
	s_waitcnt vmcnt(5) lgkmcnt(0)
	v_mul_f32_e32 v40, v5, v15
	v_mul_f32_e32 v15, v4, v15
	s_waitcnt vmcnt(3)
	v_mad_u64_u32 v[33:34], s[6:7], s5, v54, v[23:24]
	v_mov_b32_e32 v34, s3
	v_fmac_f32_e32 v35, v0, v10
	v_mov_b32_e32 v23, v33
	v_lshlrev_b64 v[22:23], 3, v[22:23]
	v_fmac_f32_e32 v40, v4, v14
	v_add_co_u32_e32 v20, vcc, v38, v22
	v_addc_co_u32_e32 v21, vcc, v39, v23, vcc
	v_add_co_u32_e32 v22, vcc, s2, v20
	v_addc_co_u32_e32 v23, vcc, v21, v36, vcc
	;; [unrolled: 2-line block ×3, first 2 shown]
	v_mul_f32_e32 v34, v19, v9
	v_mul_f32_e32 v9, v18, v9
	;; [unrolled: 1-line block ×4, first 2 shown]
	v_fmac_f32_e32 v34, v18, v8
	v_fma_f32 v8, v8, v19, -v9
	v_fma_f32 v9, v10, v1, -v11
	v_fmac_f32_e32 v36, v2, v12
	v_fma_f32 v12, v12, v3, -v13
	v_cvt_f64_f32_e32 v[0:1], v34
	v_cvt_f64_f32_e32 v[2:3], v8
	v_fma_f32 v18, v14, v5, -v15
	v_cvt_f64_f32_e32 v[4:5], v35
	v_cvt_f64_f32_e32 v[8:9], v9
	;; [unrolled: 1-line block ×4, first 2 shown]
	v_mul_f64 v[0:1], v[0:1], s[0:1]
	v_mul_f64 v[2:3], v[2:3], s[0:1]
	;; [unrolled: 1-line block ×6, first 2 shown]
	v_cvt_f64_f32_e32 v[14:15], v40
	v_cvt_f64_f32_e32 v[18:19], v18
	v_mul_f32_e32 v41, v7, v17
	v_cvt_f32_f64_e32 v0, v[0:1]
	v_mul_f64 v[14:15], v[14:15], s[0:1]
	v_mul_f64 v[18:19], v[18:19], s[0:1]
	v_cvt_f32_f64_e32 v1, v[2:3]
	v_fmac_f32_e32 v41, v6, v16
	v_cvt_f32_f64_e32 v2, v[4:5]
	v_cvt_f32_f64_e32 v3, v[8:9]
	v_cvt_f64_f32_e32 v[34:35], v41
	v_cvt_f32_f64_e32 v4, v[10:11]
	v_cvt_f32_f64_e32 v5, v[12:13]
	global_store_dwordx2 v[20:21], v[0:1], off
	global_store_dwordx2 v[22:23], v[2:3], off
	;; [unrolled: 1-line block ×3, first 2 shown]
	v_mul_f32_e32 v0, v6, v17
	v_fma_f32 v0, v16, v7, -v0
	v_mul_f64 v[10:11], v[34:35], s[0:1]
	v_cvt_f64_f32_e32 v[6:7], v0
	ds_read2_b64 v[0:3], v53 offset0:140 offset1:168
	v_cvt_f32_f64_e32 v8, v[14:15]
	v_cvt_f32_f64_e32 v9, v[18:19]
	v_add_co_u32_e32 v4, vcc, s2, v32
	v_mul_f64 v[6:7], v[6:7], s[0:1]
	v_addc_co_u32_e32 v5, vcc, v33, v37, vcc
	global_store_dwordx2 v[4:5], v[8:9], off
	s_waitcnt lgkmcnt(0)
	v_mul_f32_e32 v9, v1, v25
	v_fmac_f32_e32 v9, v0, v24
	v_cvt_f32_f64_e32 v8, v[10:11]
	v_cvt_f64_f32_e32 v[10:11], v9
	global_load_dwordx2 v[12:13], v53, s[12:13] offset:2016
	v_cvt_f32_f64_e32 v9, v[6:7]
	v_mul_f32_e32 v0, v0, v25
	v_mul_f64 v[6:7], v[10:11], s[0:1]
	global_load_dwordx2 v[10:11], v53, s[12:13] offset:2240
	v_fma_f32 v0, v24, v1, -v0
	v_cvt_f64_f32_e32 v[0:1], v0
	v_mov_b32_e32 v14, s3
	v_add_co_u32_e32 v4, vcc, s2, v4
	v_mul_f64 v[0:1], v[0:1], s[0:1]
	v_addc_co_u32_e32 v5, vcc, v5, v14, vcc
	global_store_dwordx2 v[4:5], v[8:9], off
	s_waitcnt vmcnt(9)
	v_mul_f32_e32 v8, v3, v27
	v_fmac_f32_e32 v8, v2, v26
	v_cvt_f64_f32_e32 v[8:9], v8
	v_cvt_f32_f64_e32 v6, v[6:7]
	v_cvt_f32_f64_e32 v7, v[0:1]
	v_mul_f32_e32 v1, v2, v27
	v_mul_f64 v[8:9], v[8:9], s[0:1]
	v_fma_f32 v1, v26, v3, -v1
	v_mov_b32_e32 v0, s3
	v_cvt_f64_f32_e32 v[14:15], v1
	v_add_co_u32_e32 v4, vcc, s2, v4
	v_addc_co_u32_e32 v5, vcc, v5, v0, vcc
	ds_read2_b64 v[0:3], v53 offset0:196 offset1:224
	global_store_dwordx2 v[4:5], v[6:7], off
	v_mul_f64 v[6:7], v[14:15], s[0:1]
	global_load_dwordx2 v[14:15], v53, s[12:13] offset:2464
	v_cvt_f32_f64_e32 v8, v[8:9]
	s_waitcnt vmcnt(10) lgkmcnt(0)
	v_mul_f32_e32 v9, v1, v29
	v_fmac_f32_e32 v9, v0, v28
	v_cvt_f64_f32_e32 v[16:17], v9
	v_mul_f32_e32 v0, v0, v29
	v_fma_f32 v0, v28, v1, -v0
	v_cvt_f32_f64_e32 v9, v[6:7]
	v_mul_f64 v[6:7], v[16:17], s[0:1]
	global_load_dwordx2 v[16:17], v53, s[12:13] offset:2688
	v_cvt_f64_f32_e32 v[0:1], v0
	v_mov_b32_e32 v18, s3
	v_add_co_u32_e32 v4, vcc, s2, v4
	v_mul_f64 v[0:1], v[0:1], s[0:1]
	v_addc_co_u32_e32 v5, vcc, v5, v18, vcc
	global_store_dwordx2 v[4:5], v[8:9], off
	v_cvt_f32_f64_e32 v6, v[6:7]
	v_add_co_u32_e32 v4, vcc, s2, v4
	v_or_b32_e32 v20, 0xe0, v54
	v_cvt_f32_f64_e32 v7, v[0:1]
	v_mov_b32_e32 v0, s3
	v_addc_co_u32_e32 v5, vcc, v5, v0, vcc
	s_waitcnt vmcnt(11)
	v_mul_f32_e32 v0, v3, v31
	v_fmac_f32_e32 v0, v2, v30
	v_cvt_f64_f32_e32 v[0:1], v0
	v_mul_f32_e32 v2, v2, v31
	v_fma_f32 v2, v30, v3, -v2
	v_cvt_f64_f32_e32 v[2:3], v2
	v_mul_f64 v[8:9], v[0:1], s[0:1]
	v_mad_u64_u32 v[18:19], s[6:7], s4, v20, 0
	v_add_u32_e32 v0, 0x400, v53
	global_store_dwordx2 v[4:5], v[6:7], off
	v_mul_f64 v[6:7], v[2:3], s[0:1]
	ds_read2_b64 v[0:3], v0 offset0:124 offset1:152
	v_cvt_f32_f64_e32 v8, v[8:9]
	v_mov_b32_e32 v9, v19
	s_waitcnt vmcnt(6)
	v_mad_u64_u32 v[19:20], s[6:7], s5, v20, v[9:10]
	s_waitcnt lgkmcnt(0)
	v_mul_f32_e32 v9, v1, v13
	v_fmac_f32_e32 v9, v0, v12
	v_mul_f32_e32 v0, v0, v13
	v_fma_f32 v0, v12, v1, -v0
	v_cvt_f64_f32_e32 v[20:21], v9
	v_cvt_f32_f64_e32 v9, v[6:7]
	v_lshlrev_b64 v[6:7], 3, v[18:19]
	v_cvt_f64_f32_e32 v[0:1], v0
	v_add_co_u32_e32 v6, vcc, v38, v6
	v_addc_co_u32_e32 v7, vcc, v39, v7, vcc
	global_store_dwordx2 v[6:7], v[8:9], off
	v_mul_f64 v[0:1], v[0:1], s[0:1]
	v_mul_f32_e32 v7, v3, v11
	v_fmac_f32_e32 v7, v2, v10
	v_mul_f64 v[18:19], v[20:21], s[0:1]
	v_cvt_f64_f32_e32 v[7:8], v7
	v_mul_f32_e32 v2, v2, v11
	v_fma_f32 v2, v10, v3, -v2
	v_mov_b32_e32 v9, 0x1c0
	v_cvt_f64_f32_e32 v[2:3], v2
	v_mad_u64_u32 v[4:5], s[6:7], s4, v9, v[4:5]
	v_mul_f64 v[8:9], v[7:8], s[0:1]
	v_cvt_f32_f64_e32 v7, v[0:1]
	v_add_u32_e32 v0, 0x800, v53
	v_mul_f64 v[10:11], v[2:3], s[0:1]
	ds_read2_b64 v[0:3], v0 offset0:52 offset1:80
	v_cvt_f32_f64_e32 v6, v[18:19]
	s_mul_i32 s4, s5, 0x1c0
	v_add_u32_e32 v5, s4, v5
	global_store_dwordx2 v[4:5], v[6:7], off
	v_cvt_f32_f64_e32 v6, v[8:9]
	s_waitcnt vmcnt(5) lgkmcnt(0)
	v_mul_f32_e32 v8, v1, v15
	v_fmac_f32_e32 v8, v0, v14
	v_mul_f32_e32 v0, v0, v15
	v_fma_f32 v0, v14, v1, -v0
	v_cvt_f32_f64_e32 v7, v[10:11]
	v_cvt_f64_f32_e32 v[8:9], v8
	v_cvt_f64_f32_e32 v[0:1], v0
	v_mov_b32_e32 v10, s3
	v_add_co_u32_e32 v4, vcc, s2, v4
	v_addc_co_u32_e32 v5, vcc, v5, v10, vcc
	global_store_dwordx2 v[4:5], v[6:7], off
	v_mul_f64 v[6:7], v[8:9], s[0:1]
	v_mul_f64 v[0:1], v[0:1], s[0:1]
	s_waitcnt vmcnt(5)
	v_mul_f32_e32 v8, v3, v17
	v_fmac_f32_e32 v8, v2, v16
	v_mul_f32_e32 v2, v2, v17
	v_fma_f32 v2, v16, v3, -v2
	v_cvt_f64_f32_e32 v[8:9], v8
	v_cvt_f64_f32_e32 v[2:3], v2
	v_cvt_f32_f64_e32 v6, v[6:7]
	v_cvt_f32_f64_e32 v7, v[0:1]
	v_mul_f64 v[0:1], v[8:9], s[0:1]
	v_mul_f64 v[2:3], v[2:3], s[0:1]
	v_mov_b32_e32 v8, s3
	v_add_co_u32_e32 v4, vcc, s2, v4
	v_addc_co_u32_e32 v5, vcc, v5, v8, vcc
	global_store_dwordx2 v[4:5], v[6:7], off
	v_cvt_f32_f64_e32 v0, v[0:1]
	v_cvt_f32_f64_e32 v1, v[2:3]
	v_mov_b32_e32 v3, s3
	v_add_co_u32_e32 v2, vcc, s2, v4
	v_addc_co_u32_e32 v3, vcc, v5, v3, vcc
	global_store_dwordx2 v[2:3], v[0:1], off
.LBB0_23:
	s_endpgm
	.section	.rodata,"a",@progbits
	.p2align	6, 0x0
	.amdhsa_kernel bluestein_single_back_len364_dim1_sp_op_CI_CI
		.amdhsa_group_segment_fixed_size 2912
		.amdhsa_private_segment_fixed_size 0
		.amdhsa_kernarg_size 104
		.amdhsa_user_sgpr_count 6
		.amdhsa_user_sgpr_private_segment_buffer 1
		.amdhsa_user_sgpr_dispatch_ptr 0
		.amdhsa_user_sgpr_queue_ptr 0
		.amdhsa_user_sgpr_kernarg_segment_ptr 1
		.amdhsa_user_sgpr_dispatch_id 0
		.amdhsa_user_sgpr_flat_scratch_init 0
		.amdhsa_user_sgpr_private_segment_size 0
		.amdhsa_uses_dynamic_stack 0
		.amdhsa_system_sgpr_private_segment_wavefront_offset 0
		.amdhsa_system_sgpr_workgroup_id_x 1
		.amdhsa_system_sgpr_workgroup_id_y 0
		.amdhsa_system_sgpr_workgroup_id_z 0
		.amdhsa_system_sgpr_workgroup_info 0
		.amdhsa_system_vgpr_workitem_id 0
		.amdhsa_next_free_vgpr 142
		.amdhsa_next_free_sgpr 18
		.amdhsa_reserve_vcc 1
		.amdhsa_reserve_flat_scratch 0
		.amdhsa_float_round_mode_32 0
		.amdhsa_float_round_mode_16_64 0
		.amdhsa_float_denorm_mode_32 3
		.amdhsa_float_denorm_mode_16_64 3
		.amdhsa_dx10_clamp 1
		.amdhsa_ieee_mode 1
		.amdhsa_fp16_overflow 0
		.amdhsa_exception_fp_ieee_invalid_op 0
		.amdhsa_exception_fp_denorm_src 0
		.amdhsa_exception_fp_ieee_div_zero 0
		.amdhsa_exception_fp_ieee_overflow 0
		.amdhsa_exception_fp_ieee_underflow 0
		.amdhsa_exception_fp_ieee_inexact 0
		.amdhsa_exception_int_div_zero 0
	.end_amdhsa_kernel
	.text
.Lfunc_end0:
	.size	bluestein_single_back_len364_dim1_sp_op_CI_CI, .Lfunc_end0-bluestein_single_back_len364_dim1_sp_op_CI_CI
                                        ; -- End function
	.section	.AMDGPU.csdata,"",@progbits
; Kernel info:
; codeLenInByte = 11604
; NumSgprs: 22
; NumVgprs: 142
; ScratchSize: 0
; MemoryBound: 0
; FloatMode: 240
; IeeeMode: 1
; LDSByteSize: 2912 bytes/workgroup (compile time only)
; SGPRBlocks: 2
; VGPRBlocks: 35
; NumSGPRsForWavesPerEU: 22
; NumVGPRsForWavesPerEU: 142
; Occupancy: 1
; WaveLimiterHint : 1
; COMPUTE_PGM_RSRC2:SCRATCH_EN: 0
; COMPUTE_PGM_RSRC2:USER_SGPR: 6
; COMPUTE_PGM_RSRC2:TRAP_HANDLER: 0
; COMPUTE_PGM_RSRC2:TGID_X_EN: 1
; COMPUTE_PGM_RSRC2:TGID_Y_EN: 0
; COMPUTE_PGM_RSRC2:TGID_Z_EN: 0
; COMPUTE_PGM_RSRC2:TIDIG_COMP_CNT: 0
	.type	__hip_cuid_12fe622cda35f08a,@object ; @__hip_cuid_12fe622cda35f08a
	.section	.bss,"aw",@nobits
	.globl	__hip_cuid_12fe622cda35f08a
__hip_cuid_12fe622cda35f08a:
	.byte	0                               ; 0x0
	.size	__hip_cuid_12fe622cda35f08a, 1

	.ident	"AMD clang version 19.0.0git (https://github.com/RadeonOpenCompute/llvm-project roc-6.4.0 25133 c7fe45cf4b819c5991fe208aaa96edf142730f1d)"
	.section	".note.GNU-stack","",@progbits
	.addrsig
	.addrsig_sym __hip_cuid_12fe622cda35f08a
	.amdgpu_metadata
---
amdhsa.kernels:
  - .args:
      - .actual_access:  read_only
        .address_space:  global
        .offset:         0
        .size:           8
        .value_kind:     global_buffer
      - .actual_access:  read_only
        .address_space:  global
        .offset:         8
        .size:           8
        .value_kind:     global_buffer
      - .actual_access:  read_only
        .address_space:  global
        .offset:         16
        .size:           8
        .value_kind:     global_buffer
      - .actual_access:  read_only
        .address_space:  global
        .offset:         24
        .size:           8
        .value_kind:     global_buffer
      - .actual_access:  read_only
        .address_space:  global
        .offset:         32
        .size:           8
        .value_kind:     global_buffer
      - .offset:         40
        .size:           8
        .value_kind:     by_value
      - .address_space:  global
        .offset:         48
        .size:           8
        .value_kind:     global_buffer
      - .address_space:  global
        .offset:         56
        .size:           8
        .value_kind:     global_buffer
      - .address_space:  global
        .offset:         64
        .size:           8
        .value_kind:     global_buffer
      - .address_space:  global
        .offset:         72
        .size:           8
        .value_kind:     global_buffer
      - .offset:         80
        .size:           4
        .value_kind:     by_value
      - .address_space:  global
        .offset:         88
        .size:           8
        .value_kind:     global_buffer
      - .address_space:  global
        .offset:         96
        .size:           8
        .value_kind:     global_buffer
    .group_segment_fixed_size: 2912
    .kernarg_segment_align: 8
    .kernarg_segment_size: 104
    .language:       OpenCL C
    .language_version:
      - 2
      - 0
    .max_flat_workgroup_size: 52
    .name:           bluestein_single_back_len364_dim1_sp_op_CI_CI
    .private_segment_fixed_size: 0
    .sgpr_count:     22
    .sgpr_spill_count: 0
    .symbol:         bluestein_single_back_len364_dim1_sp_op_CI_CI.kd
    .uniform_work_group_size: 1
    .uses_dynamic_stack: false
    .vgpr_count:     142
    .vgpr_spill_count: 0
    .wavefront_size: 64
amdhsa.target:   amdgcn-amd-amdhsa--gfx906
amdhsa.version:
  - 1
  - 2
...

	.end_amdgpu_metadata
